;; amdgpu-corpus repo=ROCm/aiter kind=harvested arch=n/a opt=n/a

/root/src/amdgpu-assembly/repos/ROCm__aiter/hsa/gfx942/mla/mla_a8w8_qh16_qseqlen2_gqaratio16.co:	file format elf64-amdgpu

Disassembly of section .text:

0000000000002300 <_ZN5aiter33mla_a8w8_qh16_qseqlen2_gqaratio16E>:
	s_and_b32 s1, s1, 0xffff                                   // 000000002300: 8601FF01 0000FFFF
	s_load_dwordx2 s[8:9], s[0:1], 0x0                         // 000000002308: C0060200 00000000
	s_load_dwordx2 s[12:13], s[0:1], 0x10                      // 000000002310: C0060300 00000010
	s_load_dwordx2 s[16:17], s[0:1], 0x20                      // 000000002318: C0060400 00000020
	s_load_dwordx2 s[20:21], s[0:1], 0x30                      // 000000002320: C0060500 00000030
	s_load_dwordx2 s[28:29], s[0:1], 0x40                      // 000000002328: C0060700 00000040
	s_load_dwordx2 s[24:25], s[0:1], 0x50                      // 000000002330: C0060600 00000050
	s_load_dwordx2 s[30:31], s[0:1], 0x60                      // 000000002338: C0060780 00000060
	s_load_dword s64, s[0:1], 0x70                             // 000000002340: C0021000 00000070
	s_load_dword s65, s[0:1], 0x80                             // 000000002348: C0021040 00000080
	s_load_dword s67, s[0:1], 0x90                             // 000000002350: C00210C0 00000090
	s_load_dword s66, s[0:1], 0xa0                             // 000000002358: C0021080 000000A0
	s_load_dword s68, s[0:1], 0xb0                             // 000000002360: C0021100 000000B0
	s_load_dword s69, s[0:1], 0xc0                             // 000000002368: C0021140 000000C0
	s_load_dwordx2 s[36:37], s[0:1], 0x100                     // 000000002370: C0060900 00000100
	s_load_dwordx2 s[38:39], s[0:1], 0x110                     // 000000002378: C0060980 00000110
	v_lshrrev_b32_e32 v1, 10, v0                               // 000000002380: 2002008A
	v_lshrrev_b32_e32 v2, 10, v1                               // 000000002384: 2004028A
	v_and_b32_e32 v2, 0x3ff, v2                                // 000000002388: 260404FF 000003FF
	v_and_b32_e32 v1, 0x3ff, v1                                // 000000002390: 260202FF 000003FF
	v_and_b32_e32 v0, 0x3ff, v0                                // 000000002398: 260000FF 000003FF
	v_lshrrev_b32_e32 v3, 6, v0                                // 0000000023A0: 20060086
	v_and_b32_e32 v0, 63, v0                                   // 0000000023A4: 260000BF
	s_mov_b32 s2, s2                                           // 0000000023A8: BE820002
	s_mov_b32 s3, s3                                           // 0000000023AC: BE830003
	s_mov_b32 s4, s4                                           // 0000000023B0: BE840004
	v_readfirstlane_b32 s7, v3                                 // 0000000023B4: 7E0E0503
	s_waitcnt lgkmcnt(0)                                       // 0000000023B8: BF8CC07F
	s_min_u32 s76, 16, s65                                     // 0000000023BC: 83CC4190
	s_mul_i32 s56, s3, 4                                       // 0000000023C0: 92388403
	s_and_b32 s29, s29, 0xffff                                 // 0000000023C4: 861DFF1D 0000FFFF
	s_and_b32 s31, s31, 0xffff                                 // 0000000023CC: 861FFF1F 0000FFFF
	s_add_u32 s28, s56, s28                                    // 0000000023D4: 801C1C38
	s_addc_u32 s29, 0, s29                                     // 0000000023D8: 821D1D80
	s_load_dword s47, s[28:29], 0x0                            // 0000000023DC: C0020BCE 00000000
	s_load_dword s46, s[28:29], 0x4                            // 0000000023E4: C0020B8E 00000004
	s_mul_i32 s74, 0x240, s65                                  // 0000000023EC: 924A41FF 00000240
	s_mul_i32 s56, 4, s65                                      // 0000000023F4: 92384184
	s_mov_b32 s18, s74                                         // 0000000023F8: BE92004A
	s_mov_b32 s14, s56                                         // 0000000023FC: BE8E0038
	s_mov_b32 s22, -16                                         // 000000002400: BE9600D0
	s_mov_b32 s26, -16                                         // 000000002404: BE9A00D0
	s_mov_b32 s11, 0x20000                                     // 000000002408: BE8B00FF 00020000
	s_mov_b32 s19, 0x20000                                     // 000000002410: BE9300FF 00020000
	s_mov_b32 s15, 0x20000                                     // 000000002418: BE8F00FF 00020000
	s_mov_b32 s23, 0x20000                                     // 000000002420: BE9700FF 00020000
	s_mov_b32 s27, 0x20000                                     // 000000002428: BE9B00FF 00020000
	s_and_b32 s9, s9, 0xffff                                   // 000000002430: 8609FF09 0000FFFF
	s_and_b32 s17, s17, 0xffff                                 // 000000002438: 8611FF11 0000FFFF
	s_and_b32 s13, s13, 0xffff                                 // 000000002440: 860DFF0D 0000FFFF
	s_and_b32 s21, s21, 0xffff                                 // 000000002448: 8615FF15 0000FFFF
	s_and_b32 s25, s25, 0xffff                                 // 000000002450: 8619FF19 0000FFFF
	s_and_b32 s37, s37, 0xffff                                 // 000000002458: 8625FF25 0000FFFF
	s_and_b32 s39, s39, 0xffff                                 // 000000002460: 8627FF27 0000FFFF
	s_or_b32 s9, s9, 0x40000                                   // 000000002468: 8709FF09 00040000
	s_or_b32 s17, s17, 0x40000                                 // 000000002470: 8711FF11 00040000
	s_or_b32 s13, s13, 0x40000                                 // 000000002478: 870DFF0D 00040000
	s_or_b32 s21, s21, 0x40000                                 // 000000002480: 8715FF15 00040000
	s_or_b32 s25, s25, 0x40000                                 // 000000002488: 8719FF19 00040000
	s_mov_b32 s81, 2                                           // 000000002490: BED10082
	s_mov_b32 s77, 0                                           // 000000002494: BECD0080
	s_waitcnt lgkmcnt(0)                                       // 000000002498: BF8CC07F
	s_load_dword s40, s[36:37], 0x0                            // 00000000249C: C0020A12 00000000
	s_load_dword s41, s[38:39], 0x0                            // 0000000024A4: C0020A53 00000000
	s_mov_b32 s69, 0                                           // 0000000024AC: BEC50080
	s_lshr_b32 s44, 64, s69                                    // 0000000024B0: 8F2C45C0
	s_mul_i32 s73, s44, 4                                      // 0000000024B4: 9249842C
	s_mul_i32 s73, s73, s67                                    // 0000000024B8: 92494349
	s_mul_i32 s45, s4, s44                                     // 0000000024BC: 922D2C04
	s_sub_u32 s50, s46, s47                                    // 0000000024C0: 80B22F2E
	s_lshl_b32 s56, s50, s69                                   // 0000000024C4: 8E384532
	s_sub_u32 s82, s56, s81                                    // 0000000024C8: 80D25138
	s_mov_b32 s58, s77                                         // 0000000024CC: BEBA004D
	s_add_u32 s82, s82, s58                                    // 0000000024D0: 80523A52
	s_add_u32 s57, s82, 8                                      // 0000000024D4: 80398852
	s_min_u32 s56, s56, s57                                    // 0000000024D8: 83B83938
	s_lshr_b32 s50, s56, s69                                   // 0000000024DC: 8F324538
	s_lshl_b32 s56, s45, s69                                   // 0000000024E0: 8E38452D
	s_add_u32 s83, s56, 63                                     // 0000000024E4: 8053BF38
	s_mul_i32 s84, s67, 64                                     // 0000000024E8: 9254C043
	s_mul_i32 s58, 4, 16                                       // 0000000024EC: 923A9084
	s_mul_i32 s56, s67, s58                                    // 0000000024F0: 92383A43
	s_mul_i32 s57, s81, s56                                    // 0000000024F4: 92393851
	s_mul_i32 s57, s57, s3                                     // 0000000024F8: 92390339
	s_mul_i32 s56, s4, s58                                     // 0000000024FC: 92383A04
	s_add_u32 s56, s57, s56                                    // 000000002500: 80383839
	s_add_u32 s12, s56, s12                                    // 000000002504: 800C0C38
	s_addc_u32 s13, 0, s13                                     // 000000002508: 820D0D80
	s_mov_b32 s14, 64                                          // 00000000250C: BE8E00C0
	v_and_b32_e32 v18, 15, v0                                  // 000000002510: 2624008F
	v_lshlrev_b32_e32 v18, 2, v18                              // 000000002514: 24242482
	s_cmp_le_u32 s50, s45                                      // 000000002518: BF0B2D32
	s_cbranch_scc1 label_1E37                                  // 00000000251C: BF851D6C
	s_mul_i32 s56, s50, 4                                      // 000000002520: 92388432
	s_mov_b32 s26, s56                                         // 000000002524: BE9A0038
	s_mul_i32 s56, s47, 4                                      // 000000002528: 9238842F
	s_add_u32 s24, s56, s24                                    // 00000000252C: 80181838
	s_addc_u32 s25, 0, s25                                     // 000000002530: 82191980
	s_mov_b32 s70, 0                                           // 000000002534: BEC60080
	s_sub_u32 s71, s50, s45                                    // 000000002538: 80C72D32
	s_mul_i32 s33, s67, s44                                    // 00000000253C: 92212C43
	s_mov_b32 s32, s71                                         // 000000002540: BEA00047
	v_cvt_f32_u32_e32 v34, s33                                 // 000000002544: 7E440C21
	s_sub_i32 s56, 0, s33                                      // 000000002548: 81B82180
	v_rcp_iflag_f32_e32 v34, v34                               // 00000000254C: 7E444722
	s_nop 0                                                    // 000000002550: BF800000
	v_mul_f32_e32 v34, 0x4f7ffffe, v34                         // 000000002554: 0A4444FF 4F7FFFFE
	v_cvt_u32_f32_e32 v34, v34                                 // 00000000255C: 7E440F22
	v_mul_lo_u32 v35, s56, v34                                 // 000000002560: D2850023 00024438
	v_mul_hi_u32 v35, v34, v35                                 // 000000002568: D2860023 00024722
	v_add_u32_e32 v34, v34, v35                                // 000000002570: 68444722
	v_mul_hi_u32 v34, s32, v34                                 // 000000002574: D2860022 00024420
	v_mul_lo_u32 v35, v34, s33                                 // 00000000257C: D2850023 00004322
	v_sub_u32_e32 v37, s32, v35                                // 000000002584: 6A4A4620
	v_add_u32_e32 v36, 1, v34                                  // 000000002588: 68484481
	v_cmp_le_u32_e32 vcc, s33, v37                             // 00000000258C: 7D964A21
	v_subrev_u32_e32 v35, s33, v37                             // 000000002590: 6C464A21
	s_nop 0                                                    // 000000002594: BF800000
	v_cndmask_b32_e32 v34, v34, v36, vcc                       // 000000002598: 00444922
	v_cndmask_b32_e32 v37, v37, v35, vcc                       // 00000000259C: 004A4725
	v_add_u32_e32 v35, 1, v34                                  // 0000000025A0: 68464481
	v_cmp_le_u32_e32 vcc, s33, v37                             // 0000000025A4: 7D964A21
	s_nop 1                                                    // 0000000025A8: BF800001
	v_cndmask_b32_e32 v37, v34, v35, vcc                       // 0000000025AC: 004A4722
	s_nop 3                                                    // 0000000025B0: BF800003
	v_readfirstlane_b32 s34, v37                               // 0000000025B4: 7E440525
	s_nop 3                                                    // 0000000025B8: BF800003
	s_mov_b32 s71, s34                                         // 0000000025BC: BEC70022
	s_mul_i32 s56, s71, s33                                    // 0000000025C0: 92382147
	s_sub_u32 s56, s32, s56                                    // 0000000025C4: 80B83820
	s_mov_b32 s57, 0                                           // 0000000025C8: BEB90080
	s_cmp_lt_u32 s56, s44                                      // 0000000025CC: BF0A2C38
	s_cselect_b32 s57, s57, 1                                  // 0000000025D0: 85398139
	s_add_u32 s71, s57, s71                                    // 0000000025D4: 80474739
	s_cmpk_eq_u32 s57, 0x1                                     // 0000000025D8: B4390001
	s_cselect_b32 s49, 0, s56                                  // 0000000025DC: 85313880
	s_mov_b32 s48, s49                                         // 0000000025E0: BEB00031
	v_lshrrev_b32_e32 v34, 3, v0                               // 0000000025E4: 20440083
	v_and_b32_e32 v35, 1, v34                                  // 0000000025E8: 26464481
	v_lshlrev_b32_e32 v28, 5, v35                              // 0000000025EC: 24384685
	v_lshrrev_b32_e32 v34, 1, v34                              // 0000000025F0: 20444481
	v_lshlrev_b32_e32 v34, 3, v34                              // 0000000025F4: 24444483
	v_add_u32_e32 v28, v28, v34                                // 0000000025F8: 6838451C
	v_and_b32_e32 v34, 7, v0                                   // 0000000025FC: 26440087
	v_add_u32_e32 v28, v28, v34                                // 000000002600: 6838451C
	v_add_u32_e32 v28, s45, v28                                // 000000002604: 6838382D
	v_lshlrev_b32_e32 v28, 2, v28                              // 000000002608: 24383882
	buffer_load_dword v26, v28, s[24:27], 0 offen              // 00000000260C: E0501000 80061A1C
	v_add_u32_e32 v28, s73, v28                                // 000000002614: 68383849
	buffer_load_dword v27, v28, s[24:27], 0 offen              // 000000002618: E0501000 80061B1C
	v_add_u32_e32 v28, s73, v28                                // 000000002620: 68383849
	s_mul_i32 s56, s3, s66                                     // 000000002624: 92384203
	s_add_u32 s16, s56, s16                                    // 000000002628: 80101038
	s_addc_u32 s17, 0, s17                                     // 00000000262C: 82111180
	s_mul_i32 s56, s7, 0xc20                                   // 000000002630: 9238FF07 00000C20
	s_add_u32 m0, 0, s56                                       // 000000002638: 807C3880
	s_mul_i32 s56, s7, 0x240                                   // 00000000263C: 9238FF07 00000240
	v_lshlrev_b32_e32 v34, 2, v0                               // 000000002644: 24440082
	v_add_u32_e64 v34, v34, s56                                // 000000002648: D1340022 00007122
	s_mul_i32 s56, 0x240, s76                                  // 000000002650: 92384CFF 00000240
	s_mul_i32 s56, s2, s56                                     // 000000002658: 92383802
	v_add_u32_e64 v34, v34, s56                                // 00000000265C: D1340022 00007122
	buffer_load_dword v34, s[16:19], 0 offen lds               // 000000002664: E0511000 80040022
	buffer_load_dword v34, s[16:19], 0 offen offset:256 lds    // 00000000266C: E0511100 80040022
	buffer_load_dword v34, s[16:19], 0 offen offset:512 lds    // 000000002674: E0511200 80040022
	s_add_u32 m0, m0, 0x300                                    // 00000000267C: 807CFF7C 00000300
	v_add_u32_e32 v34, 0x900, v34                              // 000000002684: 684444FF 00000900
	buffer_load_dword v34, s[16:19], 0 offen lds               // 00000000268C: E0511000 80040022
	buffer_load_dword v34, s[16:19], 0 offen offset:256 lds    // 000000002694: E0511100 80040022
	buffer_load_dword v34, s[16:19], 0 offen offset:512 lds    // 00000000269C: E0511200 80040022
	s_add_u32 m0, m0, 0x300                                    // 0000000026A4: 807CFF7C 00000300
	v_add_u32_e32 v34, 0x900, v34                              // 0000000026AC: 684444FF 00000900
	buffer_load_dword v34, s[16:19], 0 offen lds               // 0000000026B4: E0511000 80040022
	buffer_load_dword v34, s[16:19], 0 offen offset:256 lds    // 0000000026BC: E0511100 80040022
	buffer_load_dword v34, s[16:19], 0 offen offset:512 lds    // 0000000026C4: E0511200 80040022
	s_add_u32 m0, m0, 0x300                                    // 0000000026CC: 807CFF7C 00000300
	v_add_u32_e32 v34, 0x900, v34                              // 0000000026D4: 684444FF 00000900
	buffer_load_dword v34, s[16:19], 0 offen lds               // 0000000026DC: E0511000 80040022
	buffer_load_dword v34, s[16:19], 0 offen offset:256 lds    // 0000000026E4: E0511100 80040022
	buffer_load_dword v34, s[16:19], 0 offen offset:512 lds    // 0000000026EC: E0511200 80040022
	s_add_u32 m0, m0, 0x300                                    // 0000000026F4: 807CFF7C 00000300
	v_add_u32_e32 v34, 0x900, v34                              // 0000000026FC: 684444FF 00000900
	s_add_u32 m0, m0, 0x2400                                   // 000000002704: 807CFF7C 00002400
	buffer_load_dword v34, s[16:19], 0 offen lds               // 00000000270C: E0511000 80040022
	buffer_load_dword v34, s[16:19], 0 offen offset:256 lds    // 000000002714: E0511100 80040022
	buffer_load_dword v34, s[16:19], 0 offen offset:512 lds    // 00000000271C: E0511200 80040022
	s_add_u32 m0, m0, 0x300                                    // 000000002724: 807CFF7C 00000300
	v_add_u32_e32 v34, 0x900, v34                              // 00000000272C: 684444FF 00000900
	buffer_load_dword v34, s[16:19], 0 offen lds               // 000000002734: E0511000 80040022
	buffer_load_dword v34, s[16:19], 0 offen offset:256 lds    // 00000000273C: E0511100 80040022
	buffer_load_dword v34, s[16:19], 0 offen offset:512 lds    // 000000002744: E0511200 80040022
	s_add_u32 m0, m0, 0x300                                    // 00000000274C: 807CFF7C 00000300
	v_add_u32_e32 v34, 0x900, v34                              // 000000002754: 684444FF 00000900
	buffer_load_dword v34, s[16:19], 0 offen lds               // 00000000275C: E0511000 80040022
	buffer_load_dword v34, s[16:19], 0 offen offset:256 lds    // 000000002764: E0511100 80040022
	buffer_load_dword v34, s[16:19], 0 offen offset:512 lds    // 00000000276C: E0511200 80040022
	s_add_u32 m0, m0, 0x300                                    // 000000002774: 807CFF7C 00000300
	v_add_u32_e32 v34, 0x900, v34                              // 00000000277C: 684444FF 00000900
	buffer_load_dword v34, s[16:19], 0 offen lds               // 000000002784: E0511000 80040022
	buffer_load_dword v34, s[16:19], 0 offen offset:256 lds    // 00000000278C: E0511100 80040022
	buffer_load_dword v34, s[16:19], 0 offen offset:512 lds    // 000000002794: E0511200 80040022
	s_add_u32 m0, m0, 0x300                                    // 00000000279C: 807CFF7C 00000300
	v_add_u32_e32 v34, 0x900, v34                              // 0000000027A4: 684444FF 00000900
	s_add_u32 m0, m0, 0x2400                                   // 0000000027AC: 807CFF7C 00002400
	v_mov_b32_e32 v10, s68                                     // 0000000027B4: 7E140244
	s_mov_b32 s52, 0x7060302                                   // 0000000027B8: BEB400FF 07060302
	s_mov_b32 s53, 0x5040100                                   // 0000000027C0: BEB500FF 05040100
	s_mov_b32 s54, 0x5010400                                   // 0000000027C8: BEB600FF 05010400
	s_mov_b32 s55, 0x7030602                                   // 0000000027D0: BEB700FF 07030602
	s_mul_i32 s51, s7, 4                                       // 0000000027D8: 92338407
	s_mov_b32 s6, 0x3fb8aa3b                                   // 0000000027DC: BE8600FF 3FB8AA3B
	v_mov_b32_e32 v35, s6                                      // 0000000027E4: 7E460206
	v_mov_b32_e32 v34, s64                                     // 0000000027E8: 7E440240
	v_mul_f32_e32 v34, s6, v34                                 // 0000000027EC: 0A444406
	v_rcp_f32_e32 v35, v35                                     // 0000000027F0: 7E464523
	v_mov_b32_e32 v12, 0xff800000                              // 0000000027F4: 7E1802FF FF800000
	v_mov_b32_e32 v13, 0xff800000                              // 0000000027FC: 7E1A02FF FF800000
	v_mov_b32_e32 v11, 0xff800000                              // 000000002804: 7E1602FF FF800000
	v_mov_b32_e32 v20, 0                                       // 00000000280C: 7E280280
	v_mov_b32_e32 v21, 0                                       // 000000002810: 7E2A0280
	v_mov_b32_e32 v15, 0                                       // 000000002814: 7E1E0280
	v_mov_b32_e32 v16, 0                                       // 000000002818: 7E200280
	v_mov_b32_e32 v31, 0xffff0000                              // 00000000281C: 7E3E02FF FFFF0000
	v_mov_b32_e32 v32, 0x7fff0000                              // 000000002824: 7E4002FF 7FFF0000
	v_mov_b32_e32 v33, 0x7fff                                  // 00000000282C: 7E4202FF 00007FFF
	v_readfirstlane_b32 s5, v34                                // 000000002834: 7E0A0522
	v_readfirstlane_b32 s63, v35                               // 000000002838: 7E7E0523
	s_waitcnt lgkmcnt(0)                                       // 00000000283C: BF8CC07F
	v_mov_b32_e32 v34, s40                                     // 000000002840: 7E440228
	v_mul_f32_e32 v34, s41, v34                                // 000000002844: 0A444429
	v_mul_f32_e32 v35, s5, v34                                 // 000000002848: 0A464405
	v_mul_f32_e32 v37, s64, v34                                // 00000000284C: 0A4A4440
	v_readfirstlane_b32 s5, v35                                // 000000002850: 7E0A0523
	v_readfirstlane_b32 s64, v37                               // 000000002854: 7E800525
	v_and_b32_e32 v4, 15, v0                                   // 000000002858: 2608008F
	v_lshlrev_b32_e32 v4, 2, v4                                // 00000000285C: 24080882
	v_lshlrev_b32_e32 v5, 2, v0                                // 000000002860: 240A0082
	s_mul_i32 s56, 0x100, s7                                   // 000000002864: 923807FF 00000100
	v_add_u32_e32 v5, s56, v5                                  // 00000000286C: 680A0A38
	v_and_b32_e32 v34, 15, v0                                  // 000000002870: 2644008F
	v_mul_i32_i24_e32 v34, 18, v34                             // 000000002874: 0C444492
	v_lshrrev_b32_e32 v35, 4, v0                               // 000000002878: 20460084
	v_lshlrev_b32_e32 v35, 1, v35                              // 00000000287C: 24464681
	v_add_u32_e32 v6, v35, v34                                 // 000000002880: 680C4523
	v_lshlrev_b32_e32 v6, 2, v6                                // 000000002884: 240C0C82
	v_and_b32_e32 v34, 15, v0                                  // 000000002888: 2644008F
	v_mul_i32_i24_e32 v34, 18, v34                             // 00000000288C: 0C444492
	v_lshrrev_b32_e32 v35, 4, v0                               // 000000002890: 20460084
	s_mul_i32 s56, s7, 4                                       // 000000002894: 92388407
	v_add_u32_e32 v35, s56, v35                                // 000000002898: 68464638
	v_add_u32_e32 v7, v35, v34                                 // 00000000289C: 680E4523
	v_lshlrev_b32_e32 v7, 2, v7                                // 0000000028A0: 240E0E82
	v_and_b32_e32 v34, 15, v0                                  // 0000000028A4: 2644008F
	v_lshlrev_b32_e32 v2, 2, v34                               // 0000000028A8: 24044482
	v_lshlrev_b32_e32 v3, 2, v34                               // 0000000028AC: 24064482
	s_mul_i32 s56, s7, 0x80                                    // 0000000028B0: 9238FF07 00000080
	v_add_u32_e32 v2, s56, v2                                  // 0000000028B8: 68040438
	s_mul_i32 s56, 4, 0x80                                     // 0000000028BC: 9238FF84 00000080
	v_add_u32_e32 v3, s56, v3                                  // 0000000028C4: 68060638
	s_waitcnt vmcnt(24)                                        // 0000000028C8: BF8C4F78
	v_mul_u32_u24_dpp v42, v26, v10 row_newbcast:0 row_mask:0xf bank_mask:0xf// 0000000028CC: 105414FA FF01501A
	v_mul_u32_u24_dpp v43, v26, v10 row_newbcast:1 row_mask:0xf bank_mask:0xf// 0000000028D4: 105614FA FF01511A
	v_mul_u32_u24_dpp v44, v26, v10 row_newbcast:2 row_mask:0xf bank_mask:0xf// 0000000028DC: 105814FA FF01521A
	v_mul_u32_u24_dpp v45, v26, v10 row_newbcast:3 row_mask:0xf bank_mask:0xf// 0000000028E4: 105A14FA FF01531A
	v_mul_u32_u24_dpp v46, v26, v10 row_newbcast:4 row_mask:0xf bank_mask:0xf// 0000000028EC: 105C14FA FF01541A
	v_mul_u32_u24_dpp v47, v26, v10 row_newbcast:5 row_mask:0xf bank_mask:0xf// 0000000028F4: 105E14FA FF01551A
	v_mul_u32_u24_dpp v48, v26, v10 row_newbcast:6 row_mask:0xf bank_mask:0xf// 0000000028FC: 106014FA FF01561A
	v_mul_u32_u24_dpp v49, v26, v10 row_newbcast:7 row_mask:0xf bank_mask:0xf// 000000002904: 106214FA FF01571A
	v_mul_u32_u24_dpp v50, v26, v10 row_newbcast:8 row_mask:0xf bank_mask:0xf// 00000000290C: 106414FA FF01581A
	v_mul_u32_u24_dpp v51, v26, v10 row_newbcast:9 row_mask:0xf bank_mask:0xf// 000000002914: 106614FA FF01591A
	v_mul_u32_u24_dpp v52, v26, v10 row_newbcast:10 row_mask:0xf bank_mask:0xf// 00000000291C: 106814FA FF015A1A
	v_mul_u32_u24_dpp v53, v26, v10 row_newbcast:11 row_mask:0xf bank_mask:0xf// 000000002924: 106A14FA FF015B1A
	v_mul_u32_u24_dpp v54, v26, v10 row_newbcast:12 row_mask:0xf bank_mask:0xf// 00000000292C: 106C14FA FF015C1A
	v_mul_u32_u24_dpp v55, v26, v10 row_newbcast:13 row_mask:0xf bank_mask:0xf// 000000002934: 106E14FA FF015D1A
	v_mul_u32_u24_dpp v56, v26, v10 row_newbcast:14 row_mask:0xf bank_mask:0xf// 00000000293C: 107014FA FF015E1A
	v_mul_u32_u24_dpp v57, v26, v10 row_newbcast:15 row_mask:0xf bank_mask:0xf// 000000002944: 107214FA FF015F1A
	s_mov_b32 s56, m0                                          // 00000000294C: BEB8007C
	s_set_gpr_idx_on s51, gpr_idx(SRC0)                        // 000000002950: BF110133
	v_add_u32_e32 v38, v42, v3                                 // 000000002954: 684C072A
	v_add_u32_e32 v39, v43, v3                                 // 000000002958: 684E072B
	v_add_u32_e32 v40, v44, v3                                 // 00000000295C: 6850072C
	v_add_u32_e32 v41, v45, v3                                 // 000000002960: 6852072D
	s_set_gpr_idx_off                                          // 000000002964: BF9C0000
	s_mov_b32 m0, s56                                          // 000000002968: BEFC0038
	v_add_u32_e32 v42, v42, v2                                 // 00000000296C: 6854052A
	v_add_u32_e32 v43, v43, v2                                 // 000000002970: 6856052B
	v_add_u32_e32 v44, v44, v2                                 // 000000002974: 6858052C
	v_add_u32_e32 v45, v45, v2                                 // 000000002978: 685A052D
	v_add_u32_e32 v46, v46, v2                                 // 00000000297C: 685C052E
	v_add_u32_e32 v47, v47, v2                                 // 000000002980: 685E052F
	v_add_u32_e32 v48, v48, v2                                 // 000000002984: 68600530
	v_add_u32_e32 v49, v49, v2                                 // 000000002988: 68620531
	v_add_u32_e32 v50, v50, v2                                 // 00000000298C: 68640532
	v_add_u32_e32 v51, v51, v2                                 // 000000002990: 68660533
	v_add_u32_e32 v52, v52, v2                                 // 000000002994: 68680534
	v_add_u32_e32 v53, v53, v2                                 // 000000002998: 686A0535
	v_add_u32_e32 v54, v54, v2                                 // 00000000299C: 686C0536
	v_add_u32_e32 v55, v55, v2                                 // 0000000029A0: 686E0537
	v_add_u32_e32 v56, v56, v2                                 // 0000000029A4: 68700538
	v_add_u32_e32 v57, v57, v2                                 // 0000000029A8: 68720539
	buffer_load_dword v154, v42, s[20:23], 0 offen             // 0000000029AC: E0501000 80059A2A
	buffer_load_dword v155, v42, s[20:23], 0 offen offset:64   // 0000000029B4: E0501040 80059B2A
	buffer_load_dword v156, v43, s[20:23], 0 offen             // 0000000029BC: E0501000 80059C2B
	buffer_load_dword v157, v43, s[20:23], 0 offen offset:64   // 0000000029C4: E0501040 80059D2B
	buffer_load_dword v158, v44, s[20:23], 0 offen             // 0000000029CC: E0501000 80059E2C
	buffer_load_dword v159, v44, s[20:23], 0 offen offset:64   // 0000000029D4: E0501040 80059F2C
	buffer_load_dword v160, v45, s[20:23], 0 offen             // 0000000029DC: E0501000 8005A02D
	buffer_load_dword v161, v45, s[20:23], 0 offen offset:64   // 0000000029E4: E0501040 8005A12D
	buffer_load_dword v162, v46, s[20:23], 0 offen             // 0000000029EC: E0501000 8005A22E
	buffer_load_dword v163, v46, s[20:23], 0 offen offset:64   // 0000000029F4: E0501040 8005A32E
	buffer_load_dword v164, v47, s[20:23], 0 offen             // 0000000029FC: E0501000 8005A42F
	buffer_load_dword v165, v47, s[20:23], 0 offen offset:64   // 000000002A04: E0501040 8005A52F
	buffer_load_dword v166, v48, s[20:23], 0 offen             // 000000002A0C: E0501000 8005A630
	buffer_load_dword v167, v48, s[20:23], 0 offen offset:64   // 000000002A14: E0501040 8005A730
	buffer_load_dword v168, v49, s[20:23], 0 offen             // 000000002A1C: E0501000 8005A831
	buffer_load_dword v169, v49, s[20:23], 0 offen offset:64   // 000000002A24: E0501040 8005A931
	buffer_load_dword v170, v50, s[20:23], 0 offen             // 000000002A2C: E0501000 8005AA32
	buffer_load_dword v171, v50, s[20:23], 0 offen offset:64   // 000000002A34: E0501040 8005AB32
	buffer_load_dword v172, v51, s[20:23], 0 offen             // 000000002A3C: E0501000 8005AC33
	buffer_load_dword v173, v51, s[20:23], 0 offen offset:64   // 000000002A44: E0501040 8005AD33
	buffer_load_dword v174, v52, s[20:23], 0 offen             // 000000002A4C: E0501000 8005AE34
	buffer_load_dword v175, v52, s[20:23], 0 offen offset:64   // 000000002A54: E0501040 8005AF34
	buffer_load_dword v176, v53, s[20:23], 0 offen             // 000000002A5C: E0501000 8005B035
	buffer_load_dword v177, v53, s[20:23], 0 offen offset:64   // 000000002A64: E0501040 8005B135
	buffer_load_dword v178, v54, s[20:23], 0 offen             // 000000002A6C: E0501000 8005B236
	buffer_load_dword v179, v54, s[20:23], 0 offen offset:64   // 000000002A74: E0501040 8005B336
	buffer_load_dword v180, v55, s[20:23], 0 offen             // 000000002A7C: E0501000 8005B437
	buffer_load_dword v181, v55, s[20:23], 0 offen offset:64   // 000000002A84: E0501040 8005B537
	buffer_load_dword v182, v56, s[20:23], 0 offen             // 000000002A8C: E0501000 8005B638
	buffer_load_dword v183, v56, s[20:23], 0 offen offset:64   // 000000002A94: E0501040 8005B738
	buffer_load_dword v184, v57, s[20:23], 0 offen             // 000000002A9C: E0501000 8005B839
	buffer_load_dword v185, v57, s[20:23], 0 offen offset:64   // 000000002AA4: E0501040 8005B939
	buffer_load_dword v74, v38, s[20:23], 0 offen              // 000000002AAC: E0501000 80054A26
	buffer_load_dword v75, v39, s[20:23], 0 offen              // 000000002AB4: E0501000 80054B27
	buffer_load_dword v76, v40, s[20:23], 0 offen              // 000000002ABC: E0501000 80054C28
	buffer_load_dword v77, v41, s[20:23], 0 offen              // 000000002AC4: E0501000 80054D29
	buffer_load_dword v26, v28, s[24:27], 0 offen              // 000000002ACC: E0501000 80061A1C
	v_add_u32_e32 v28, s73, v28                                // 000000002AD4: 68383849
	v_lshrrev_b32_e32 v34, 4, v0                               // 000000002AD8: 20440084
	v_lshlrev_b32_e32 v35, 2, v34                              // 000000002ADC: 24464482
	v_and_b32_e32 v34, 15, v0                                  // 000000002AE0: 2644008F
	v_lshrrev_b32_e32 v36, 2, v34                              // 000000002AE4: 20484482
	v_mul_i32_i24_e32 v36, 0xc0, v36                           // 000000002AE8: 0C4848FF 000000C0
	v_add_u32_e32 v35, v36, v35                                // 000000002AF0: 68464724
	v_and_b32_e32 v34, 3, v0                                   // 000000002AF4: 26440083
	v_mul_i32_i24_e32 v36, 0x308, v34                          // 000000002AF8: 0C4844FF 00000308
	v_add_u32_e32 v35, v36, v35                                // 000000002B00: 68464724
	v_lshlrev_b32_e32 v1, 2, v35                               // 000000002B04: 24024682
	s_waitcnt vmcnt(37) lgkmcnt(0)                             // 000000002B08: BF8C8075
	s_barrier                                                  // 000000002B0C: BF8A0000
	ds_read_b128 a[0:3], v1                                    // 000000002B10: DBFE0000 00000001
	ds_read_b128 a[4:7], v1 offset:64                          // 000000002B18: DBFE0040 04000001
	ds_read_b128 a[8:11], v1 offset:128                        // 000000002B20: DBFE0080 08000001
	ds_read_b128 a[12:15], v1 offset:192                       // 000000002B28: DBFE00C0 0C000001
	ds_read_b128 a[16:19], v1 offset:256                       // 000000002B30: DBFE0100 10000001
	ds_read_b128 a[20:23], v1 offset:320                       // 000000002B38: DBFE0140 14000001
	ds_read_b128 a[24:27], v1 offset:384                       // 000000002B40: DBFE0180 18000001
	ds_read_b128 a[28:31], v1 offset:448                       // 000000002B48: DBFE01C0 1C000001
	ds_read_b128 a[32:35], v1 offset:512                       // 000000002B50: DBFE0200 20000001
	ds_read_b128 a[36:39], v1 offset:12288                     // 000000002B58: DBFE3000 24000001
	ds_read_b128 a[40:43], v1 offset:12352                     // 000000002B60: DBFE3040 28000001
	ds_read_b128 a[44:47], v1 offset:12416                     // 000000002B68: DBFE3080 2C000001
	ds_read_b128 a[48:51], v1 offset:12480                     // 000000002B70: DBFE30C0 30000001
	ds_read_b128 a[52:55], v1 offset:12544                     // 000000002B78: DBFE3100 34000001
	ds_read_b128 a[56:59], v1 offset:12608                     // 000000002B80: DBFE3140 38000001
	ds_read_b128 a[60:63], v1 offset:12672                     // 000000002B88: DBFE3180 3C000001
	ds_read_b128 a[64:67], v1 offset:12736                     // 000000002B90: DBFE31C0 40000001
	ds_read_b128 a[68:71], v1 offset:12800                     // 000000002B98: DBFE3200 44000001
	v_mov_b32_e32 v90, 0                                       // 000000002BA0: 7EB40280
	v_mov_b32_e32 v91, 0                                       // 000000002BA4: 7EB60280
	v_mov_b32_e32 v92, 0                                       // 000000002BA8: 7EB80280
	v_mov_b32_e32 v93, 0                                       // 000000002BAC: 7EBA0280
	v_mov_b32_e32 v94, 0                                       // 000000002BB0: 7EBC0280
	v_mov_b32_e32 v95, 0                                       // 000000002BB4: 7EBE0280
	v_mov_b32_e32 v96, 0                                       // 000000002BB8: 7EC00280
	v_mov_b32_e32 v97, 0                                       // 000000002BBC: 7EC20280
	v_mov_b32_e32 v98, 0                                       // 000000002BC0: 7EC40280
	v_mov_b32_e32 v99, 0                                       // 000000002BC4: 7EC60280
	v_mov_b32_e32 v100, 0                                      // 000000002BC8: 7EC80280
	v_mov_b32_e32 v101, 0                                      // 000000002BCC: 7ECA0280
	v_mov_b32_e32 v102, 0                                      // 000000002BD0: 7ECC0280
	v_mov_b32_e32 v103, 0                                      // 000000002BD4: 7ECE0280
	v_mov_b32_e32 v104, 0                                      // 000000002BD8: 7ED00280
	v_mov_b32_e32 v105, 0                                      // 000000002BDC: 7ED20280
	v_mov_b32_e32 v106, 0                                      // 000000002BE0: 7ED40280
	v_mov_b32_e32 v107, 0                                      // 000000002BE4: 7ED60280
	v_mov_b32_e32 v108, 0                                      // 000000002BE8: 7ED80280
	v_mov_b32_e32 v109, 0                                      // 000000002BEC: 7EDA0280
	v_mov_b32_e32 v110, 0                                      // 000000002BF0: 7EDC0280
	v_mov_b32_e32 v111, 0                                      // 000000002BF4: 7EDE0280
	v_mov_b32_e32 v112, 0                                      // 000000002BF8: 7EE00280
	v_mov_b32_e32 v113, 0                                      // 000000002BFC: 7EE20280
	v_mov_b32_e32 v114, 0                                      // 000000002C00: 7EE40280
	v_mov_b32_e32 v115, 0                                      // 000000002C04: 7EE60280
	v_mov_b32_e32 v116, 0                                      // 000000002C08: 7EE80280
	v_mov_b32_e32 v117, 0                                      // 000000002C0C: 7EEA0280
	v_mov_b32_e32 v118, 0                                      // 000000002C10: 7EEC0280
	v_mov_b32_e32 v119, 0                                      // 000000002C14: 7EEE0280
	v_mov_b32_e32 v120, 0                                      // 000000002C18: 7EF00280
	v_mov_b32_e32 v121, 0                                      // 000000002C1C: 7EF20280
	v_mov_b32_e32 v122, 0                                      // 000000002C20: 7EF40280
	v_mov_b32_e32 v123, 0                                      // 000000002C24: 7EF60280
	v_mov_b32_e32 v124, 0                                      // 000000002C28: 7EF80280
	v_mov_b32_e32 v125, 0                                      // 000000002C2C: 7EFA0280
	v_mov_b32_e32 v126, 0                                      // 000000002C30: 7EFC0280
	v_mov_b32_e32 v127, 0                                      // 000000002C34: 7EFE0280
	v_mov_b32_e32 v128, 0                                      // 000000002C38: 7F000280
	v_mov_b32_e32 v129, 0                                      // 000000002C3C: 7F020280
	v_mov_b32_e32 v130, 0                                      // 000000002C40: 7F040280
	v_mov_b32_e32 v131, 0                                      // 000000002C44: 7F060280
	v_mov_b32_e32 v132, 0                                      // 000000002C48: 7F080280
	v_mov_b32_e32 v133, 0                                      // 000000002C4C: 7F0A0280
	v_mov_b32_e32 v134, 0                                      // 000000002C50: 7F0C0280
	v_mov_b32_e32 v135, 0                                      // 000000002C54: 7F0E0280
	v_mov_b32_e32 v136, 0                                      // 000000002C58: 7F100280
	v_mov_b32_e32 v137, 0                                      // 000000002C5C: 7F120280
	v_mov_b32_e32 v138, 0                                      // 000000002C60: 7F140280
	v_mov_b32_e32 v139, 0                                      // 000000002C64: 7F160280
	v_mov_b32_e32 v140, 0                                      // 000000002C68: 7F180280
	v_mov_b32_e32 v141, 0                                      // 000000002C6C: 7F1A0280
	v_mov_b32_e32 v142, 0                                      // 000000002C70: 7F1C0280
	v_mov_b32_e32 v143, 0                                      // 000000002C74: 7F1E0280
	v_mov_b32_e32 v144, 0                                      // 000000002C78: 7F200280
	v_mov_b32_e32 v145, 0                                      // 000000002C7C: 7F220280
	v_mov_b32_e32 v146, 0                                      // 000000002C80: 7F240280
	v_mov_b32_e32 v147, 0                                      // 000000002C84: 7F260280
	v_mov_b32_e32 v148, 0                                      // 000000002C88: 7F280280
	v_mov_b32_e32 v149, 0                                      // 000000002C8C: 7F2A0280
	v_mov_b32_e32 v150, 0                                      // 000000002C90: 7F2C0280
	v_mov_b32_e32 v151, 0                                      // 000000002C94: 7F2E0280
	v_mov_b32_e32 v152, 0                                      // 000000002C98: 7F300280
	v_mov_b32_e32 v153, 0                                      // 000000002C9C: 7F320280
	v_lshrrev_b32_e32 v34, 4, v0                               // 000000002CA0: 20440084
	v_mul_i32_i24_e32 v35, 0x100, v34                          // 000000002CA4: 0C4644FF 00000100
	v_and_b32_e32 v34, 15, v0                                  // 000000002CAC: 2644008F
	v_mul_i32_i24_e32 v36, 1, v34                              // 000000002CB0: 0C484481
	v_add_u32_e32 v22, v36, v35                                // 000000002CB4: 682C4724
	s_mul_i32 s56, s7, 32                                      // 000000002CB8: 9238A007
	v_add_u32_e32 v22, s56, v22                                // 000000002CBC: 682C2C38
	v_lshlrev_b32_e32 v22, 2, v22                              // 000000002CC0: 242C2C82
	v_lshrrev_b32_e32 v34, 4, v0                               // 000000002CC4: 20440084
	v_mul_i32_i24_e32 v35, 0x90, v34                           // 000000002CC8: 0C4644FF 00000090
	v_and_b32_e32 v36, 15, v0                                  // 000000002CD0: 2648008F
	v_add_u32_e32 v23, v36, v35                                // 000000002CD4: 682E4724
	s_and_b32 s56, 1, s7                                       // 000000002CD8: 86380781
	s_mul_i32 s56, s56, 0x48                                   // 000000002CDC: 9238FF38 00000048
	s_lshr_b32 s57, s7, 1                                      // 000000002CE4: 8F398107
	s_mul_i32 s57, s57, 0x240                                  // 000000002CE8: 9239FF39 00000240
	s_add_u32 s56, s56, s57                                    // 000000002CF0: 80383938
	v_add_u32_e32 v23, s56, v23                                // 000000002CF4: 682E2E38
	v_lshlrev_b32_e32 v23, 2, v23                              // 000000002CF8: 242E2E82
	v_lshrrev_b32_e32 v34, 4, v0                               // 000000002CFC: 20440084
	v_mul_i32_i24_e32 v35, 4, v34                              // 000000002D00: 0C464484
	v_and_b32_e32 v34, 15, v0                                  // 000000002D04: 2644008F
	v_and_b32_e32 v36, 3, v34                                  // 000000002D08: 26484483
	v_mul_i32_i24_e32 v36, 0x408, v36                          // 000000002D0C: 0C4848FF 00000408
	v_add_u32_e32 v24, v36, v35                                // 000000002D14: 68304724
	v_lshrrev_b32_e32 v34, 2, v34                              // 000000002D18: 20444482
	v_mul_i32_i24_e32 v34, 0x80, v34                           // 000000002D1C: 0C4444FF 00000080
	v_add_u32_e32 v24, v34, v24                                // 000000002D24: 68303122
	s_and_b32 s56, 1, s7                                       // 000000002D28: 86380781
	s_mul_i32 s56, s56, 0x200                                  // 000000002D2C: 9238FF38 00000200
	v_add_u32_e32 v24, s56, v24                                // 000000002D34: 68303038
	v_lshlrev_b32_e32 v24, 2, v24                              // 000000002D38: 24303082
	v_lshrrev_b32_e32 v34, 4, v0                               // 000000002D3C: 20440084
	v_mul_i32_i24_e32 v35, 4, v34                              // 000000002D40: 0C464484
	v_and_b32_e32 v36, 15, v0                                  // 000000002D44: 2648008F
	v_mul_i32_i24_e32 v36, 18, v36                             // 000000002D48: 0C484892
	v_add_u32_e32 v25, v36, v35                                // 000000002D4C: 68324724
	s_mul_i32 s56, s7, 0x120                                   // 000000002D50: 9238FF07 00000120
	v_add_u32_e32 v25, s56, v25                                // 000000002D58: 68323238
	v_lshlrev_b32_e32 v25, 2, v25                              // 000000002D5C: 24323282
	v_mul_u32_u24_dpp v42, v27, v10 row_newbcast:0 row_mask:0xf bank_mask:0xf// 000000002D60: 105414FA FF01501B
	v_mul_u32_u24_dpp v43, v27, v10 row_newbcast:1 row_mask:0xf bank_mask:0xf// 000000002D68: 105614FA FF01511B
	v_mul_u32_u24_dpp v44, v27, v10 row_newbcast:2 row_mask:0xf bank_mask:0xf// 000000002D70: 105814FA FF01521B
	v_mul_u32_u24_dpp v45, v27, v10 row_newbcast:3 row_mask:0xf bank_mask:0xf// 000000002D78: 105A14FA FF01531B
	v_mul_u32_u24_dpp v46, v27, v10 row_newbcast:4 row_mask:0xf bank_mask:0xf// 000000002D80: 105C14FA FF01541B
	v_mul_u32_u24_dpp v47, v27, v10 row_newbcast:5 row_mask:0xf bank_mask:0xf// 000000002D88: 105E14FA FF01551B
	v_mul_u32_u24_dpp v48, v27, v10 row_newbcast:6 row_mask:0xf bank_mask:0xf// 000000002D90: 106014FA FF01561B
	v_mul_u32_u24_dpp v49, v27, v10 row_newbcast:7 row_mask:0xf bank_mask:0xf// 000000002D98: 106214FA FF01571B
	v_mul_u32_u24_dpp v50, v27, v10 row_newbcast:8 row_mask:0xf bank_mask:0xf// 000000002DA0: 106414FA FF01581B
	v_mul_u32_u24_dpp v51, v27, v10 row_newbcast:9 row_mask:0xf bank_mask:0xf// 000000002DA8: 106614FA FF01591B
	v_mul_u32_u24_dpp v52, v27, v10 row_newbcast:10 row_mask:0xf bank_mask:0xf// 000000002DB0: 106814FA FF015A1B
	v_mul_u32_u24_dpp v53, v27, v10 row_newbcast:11 row_mask:0xf bank_mask:0xf// 000000002DB8: 106A14FA FF015B1B
	v_mul_u32_u24_dpp v54, v27, v10 row_newbcast:12 row_mask:0xf bank_mask:0xf// 000000002DC0: 106C14FA FF015C1B
	v_mul_u32_u24_dpp v55, v27, v10 row_newbcast:13 row_mask:0xf bank_mask:0xf// 000000002DC8: 106E14FA FF015D1B
	v_mul_u32_u24_dpp v56, v27, v10 row_newbcast:14 row_mask:0xf bank_mask:0xf// 000000002DD0: 107014FA FF015E1B
	v_mul_u32_u24_dpp v57, v27, v10 row_newbcast:15 row_mask:0xf bank_mask:0xf// 000000002DD8: 107214FA FF015F1B
	s_mov_b32 s56, m0                                          // 000000002DE0: BEB8007C
	s_set_gpr_idx_on s51, gpr_idx(SRC0)                        // 000000002DE4: BF110133
	v_add_u32_e32 v38, v42, v3                                 // 000000002DE8: 684C072A
	v_add_u32_e32 v39, v43, v3                                 // 000000002DEC: 684E072B
	v_add_u32_e32 v40, v44, v3                                 // 000000002DF0: 6850072C
	v_add_u32_e32 v41, v45, v3                                 // 000000002DF4: 6852072D
	s_set_gpr_idx_off                                          // 000000002DF8: BF9C0000
	s_mov_b32 m0, s56                                          // 000000002DFC: BEFC0038
	v_add_u32_e32 v42, v42, v2                                 // 000000002E00: 6854052A
	v_add_u32_e32 v43, v43, v2                                 // 000000002E04: 6856052B
	v_add_u32_e32 v44, v44, v2                                 // 000000002E08: 6858052C
	v_add_u32_e32 v45, v45, v2                                 // 000000002E0C: 685A052D
	v_add_u32_e32 v46, v46, v2                                 // 000000002E10: 685C052E
	v_add_u32_e32 v47, v47, v2                                 // 000000002E14: 685E052F
	v_add_u32_e32 v48, v48, v2                                 // 000000002E18: 68600530
	v_add_u32_e32 v49, v49, v2                                 // 000000002E1C: 68620531
	v_add_u32_e32 v50, v50, v2                                 // 000000002E20: 68640532
	v_add_u32_e32 v51, v51, v2                                 // 000000002E24: 68660533
	v_add_u32_e32 v52, v52, v2                                 // 000000002E28: 68680534
	v_add_u32_e32 v53, v53, v2                                 // 000000002E2C: 686A0535
	v_add_u32_e32 v54, v54, v2                                 // 000000002E30: 686C0536
	v_add_u32_e32 v55, v55, v2                                 // 000000002E34: 686E0537
	v_add_u32_e32 v56, v56, v2                                 // 000000002E38: 68700538
	v_add_u32_e32 v57, v57, v2                                 // 000000002E3C: 68720539
	buffer_load_dword v27, v28, s[24:27], 0 offen              // 000000002E40: E0501000 80061B1C
	v_add_u32_e32 v28, s73, v28                                // 000000002E48: 68383849
	buffer_load_dword v186, v42, s[20:23], 0 offen             // 000000002E4C: E0501000 8005BA2A
	buffer_load_dword v187, v42, s[20:23], 0 offen offset:64   // 000000002E54: E0501040 8005BB2A
	buffer_load_dword v188, v43, s[20:23], 0 offen             // 000000002E5C: E0501000 8005BC2B
	buffer_load_dword v189, v43, s[20:23], 0 offen offset:64   // 000000002E64: E0501040 8005BD2B
	buffer_load_dword v190, v44, s[20:23], 0 offen             // 000000002E6C: E0501000 8005BE2C
	buffer_load_dword v191, v44, s[20:23], 0 offen offset:64   // 000000002E74: E0501040 8005BF2C
	buffer_load_dword v192, v45, s[20:23], 0 offen             // 000000002E7C: E0501000 8005C02D
	buffer_load_dword v193, v45, s[20:23], 0 offen offset:64   // 000000002E84: E0501040 8005C12D
	buffer_load_dword v194, v46, s[20:23], 0 offen             // 000000002E8C: E0501000 8005C22E
	buffer_load_dword v195, v46, s[20:23], 0 offen offset:64   // 000000002E94: E0501040 8005C32E
	buffer_load_dword v196, v47, s[20:23], 0 offen             // 000000002E9C: E0501000 8005C42F
	buffer_load_dword v197, v47, s[20:23], 0 offen offset:64   // 000000002EA4: E0501040 8005C52F
	buffer_load_dword v198, v48, s[20:23], 0 offen             // 000000002EAC: E0501000 8005C630
	buffer_load_dword v199, v48, s[20:23], 0 offen offset:64   // 000000002EB4: E0501040 8005C730
	buffer_load_dword v200, v49, s[20:23], 0 offen             // 000000002EBC: E0501000 8005C831
	buffer_load_dword v201, v49, s[20:23], 0 offen offset:64   // 000000002EC4: E0501040 8005C931
	buffer_load_dword v78, v38, s[20:23], 0 offen              // 000000002ECC: E0501000 80054E26
	buffer_load_dword v79, v39, s[20:23], 0 offen              // 000000002ED4: E0501000 80054F27
	buffer_load_dword v80, v40, s[20:23], 0 offen              // 000000002EDC: E0501000 80055028
	buffer_load_dword v81, v41, s[20:23], 0 offen              // 000000002EE4: E0501000 80055129
	buffer_load_dword v202, v50, s[20:23], 0 offen             // 000000002EEC: E0501000 8005CA32
	buffer_load_dword v203, v50, s[20:23], 0 offen offset:64   // 000000002EF4: E0501040 8005CB32
	buffer_load_dword v204, v51, s[20:23], 0 offen             // 000000002EFC: E0501000 8005CC33
	buffer_load_dword v205, v51, s[20:23], 0 offen offset:64   // 000000002F04: E0501040 8005CD33
	buffer_load_dword v206, v52, s[20:23], 0 offen             // 000000002F0C: E0501000 8005CE34
	buffer_load_dword v207, v52, s[20:23], 0 offen offset:64   // 000000002F14: E0501040 8005CF34
	buffer_load_dword v208, v53, s[20:23], 0 offen             // 000000002F1C: E0501000 8005D035
	buffer_load_dword v209, v53, s[20:23], 0 offen offset:64   // 000000002F24: E0501040 8005D135
	buffer_load_dword v210, v54, s[20:23], 0 offen             // 000000002F2C: E0501000 8005D236
	buffer_load_dword v211, v54, s[20:23], 0 offen offset:64   // 000000002F34: E0501040 8005D336
	buffer_load_dword v212, v55, s[20:23], 0 offen             // 000000002F3C: E0501000 8005D437
	buffer_load_dword v213, v55, s[20:23], 0 offen offset:64   // 000000002F44: E0501040 8005D537
	buffer_load_dword v214, v56, s[20:23], 0 offen             // 000000002F4C: E0501000 8005D638
	buffer_load_dword v215, v56, s[20:23], 0 offen offset:64   // 000000002F54: E0501040 8005D738
	buffer_load_dword v216, v57, s[20:23], 0 offen             // 000000002F5C: E0501000 8005D839
	buffer_load_dword v217, v57, s[20:23], 0 offen offset:64   // 000000002F64: E0501040 8005D939
	s_waitcnt vmcnt(37) lgkmcnt(0)                             // 000000002F6C: BF8C8075
	s_barrier                                                  // 000000002F70: BF8A0000
	v_mul_u32_u24_dpp v42, v26, v10 row_newbcast:0 row_mask:0xf bank_mask:0xf// 000000002F74: 105414FA FF01501A
	v_mul_u32_u24_dpp v43, v26, v10 row_newbcast:1 row_mask:0xf bank_mask:0xf// 000000002F7C: 105614FA FF01511A
	v_mul_u32_u24_dpp v44, v26, v10 row_newbcast:2 row_mask:0xf bank_mask:0xf// 000000002F84: 105814FA FF01521A
	v_mul_u32_u24_dpp v45, v26, v10 row_newbcast:3 row_mask:0xf bank_mask:0xf// 000000002F8C: 105A14FA FF01531A
	v_mul_u32_u24_dpp v46, v26, v10 row_newbcast:4 row_mask:0xf bank_mask:0xf// 000000002F94: 105C14FA FF01541A
	v_mul_u32_u24_dpp v47, v26, v10 row_newbcast:5 row_mask:0xf bank_mask:0xf// 000000002F9C: 105E14FA FF01551A
	v_mul_u32_u24_dpp v48, v26, v10 row_newbcast:6 row_mask:0xf bank_mask:0xf// 000000002FA4: 106014FA FF01561A
	v_mul_u32_u24_dpp v49, v26, v10 row_newbcast:7 row_mask:0xf bank_mask:0xf// 000000002FAC: 106214FA FF01571A
	v_mul_u32_u24_dpp v50, v26, v10 row_newbcast:8 row_mask:0xf bank_mask:0xf// 000000002FB4: 106414FA FF01581A
	v_mul_u32_u24_dpp v51, v26, v10 row_newbcast:9 row_mask:0xf bank_mask:0xf// 000000002FBC: 106614FA FF01591A
	v_mul_u32_u24_dpp v52, v26, v10 row_newbcast:10 row_mask:0xf bank_mask:0xf// 000000002FC4: 106814FA FF015A1A
	v_mul_u32_u24_dpp v53, v26, v10 row_newbcast:11 row_mask:0xf bank_mask:0xf// 000000002FCC: 106A14FA FF015B1A
	v_mul_u32_u24_dpp v54, v26, v10 row_newbcast:12 row_mask:0xf bank_mask:0xf// 000000002FD4: 106C14FA FF015C1A
	v_mul_u32_u24_dpp v55, v26, v10 row_newbcast:13 row_mask:0xf bank_mask:0xf// 000000002FDC: 106E14FA FF015D1A
	v_mul_u32_u24_dpp v56, v26, v10 row_newbcast:14 row_mask:0xf bank_mask:0xf// 000000002FE4: 107014FA FF015E1A
	v_mul_u32_u24_dpp v57, v26, v10 row_newbcast:15 row_mask:0xf bank_mask:0xf// 000000002FEC: 107214FA FF015F1A
	s_mov_b32 s56, m0                                          // 000000002FF4: BEB8007C
	s_set_gpr_idx_on s51, gpr_idx(SRC0)                        // 000000002FF8: BF110133
	v_add_u32_e32 v38, v42, v3                                 // 000000002FFC: 684C072A
	v_add_u32_e32 v39, v43, v3                                 // 000000003000: 684E072B
	v_add_u32_e32 v40, v44, v3                                 // 000000003004: 6850072C
	v_add_u32_e32 v41, v45, v3                                 // 000000003008: 6852072D
	s_set_gpr_idx_off                                          // 00000000300C: BF9C0000
	s_mov_b32 m0, s56                                          // 000000003010: BEFC0038
	v_add_u32_e32 v42, v42, v2                                 // 000000003014: 6854052A
	v_add_u32_e32 v43, v43, v2                                 // 000000003018: 6856052B
	v_add_u32_e32 v44, v44, v2                                 // 00000000301C: 6858052C
	v_add_u32_e32 v45, v45, v2                                 // 000000003020: 685A052D
	v_add_u32_e32 v46, v46, v2                                 // 000000003024: 685C052E
	v_add_u32_e32 v47, v47, v2                                 // 000000003028: 685E052F
	v_add_u32_e32 v48, v48, v2                                 // 00000000302C: 68600530
	v_add_u32_e32 v49, v49, v2                                 // 000000003030: 68620531
	v_add_u32_e32 v50, v50, v2                                 // 000000003034: 68640532
	;; [unrolled: 1-line block ×3, first 2 shown]
	v_add_u32_e32 v52, v52, v2                                 // 00000000303C: 68680534
	v_add_u32_e32 v53, v53, v2                                 // 000000003040: 686A0535
	v_add_u32_e32 v54, v54, v2                                 // 000000003044: 686C0536
	v_add_u32_e32 v55, v55, v2                                 // 000000003048: 686E0537
	v_add_u32_e32 v56, v56, v2                                 // 00000000304C: 68700538
	v_add_u32_e32 v57, v57, v2                                 // 000000003050: 68720539
	ds_write_b32 v22, v154                                     // 000000003054: D81A0000 00009A16
	ds_write_b32 v22, v155 offset:64                           // 00000000305C: D81A0040 00009B16
	ds_write_b32 v22, v156 offset:4128                         // 000000003064: D81A1020 00009C16
	ds_write_b32 v22, v157 offset:4192                         // 00000000306C: D81A1060 00009D16
	ds_write_b32 v22, v158 offset:8256                         // 000000003074: D81A2040 00009E16
	ds_write_b32 v22, v159 offset:8320                         // 00000000307C: D81A2080 00009F16
	ds_write_b32 v22, v160 offset:12384                        // 000000003084: D81A3060 0000A016
	ds_write_b32 v22, v161 offset:12448                        // 00000000308C: D81A30A0 0000A116
	ds_write_b32 v22, v162 offset:512                          // 000000003094: D81A0200 0000A216
	ds_write_b32 v22, v163 offset:576                          // 00000000309C: D81A0240 0000A316
	ds_write_b32 v22, v164 offset:4640                         // 0000000030A4: D81A1220 0000A416
	ds_write_b32 v22, v165 offset:4704                         // 0000000030AC: D81A1260 0000A516
	ds_write_b32 v22, v166 offset:8768                         // 0000000030B4: D81A2240 0000A616
	ds_write_b32 v22, v167 offset:8832                         // 0000000030BC: D81A2280 0000A716
	ds_write_b32 v22, v168 offset:12896                        // 0000000030C4: D81A3260 0000A816
	ds_write_b32 v22, v169 offset:12960                        // 0000000030CC: D81A32A0 0000A916
	ds_write_b32 v23, v74 offset:16512                         // 0000000030D4: D81A4080 00004A17
	ds_write_b32 v23, v75 offset:16584                         // 0000000030DC: D81A40C8 00004B17
	ds_write_b32 v23, v76 offset:16656                         // 0000000030E4: D81A4110 00004C17
	ds_write_b32 v23, v77 offset:16728                         // 0000000030EC: D81A4158 00004D17
	s_waitcnt lgkmcnt(0)                                       // 0000000030F4: BF8CC07F
	s_barrier                                                  // 0000000030F8: BF8A0000
	s_cmp_lt_i32 s7, 2                                         // 0000000030FC: BF048207
	s_cbranch_scc0 label_0391                                  // 000000003100: BF840010
	ds_read_b128 a[72:75], v24                                 // 000000003104: DBFE0000 48000018
	ds_read_b128 a[76:79], v24 offset:64                       // 00000000310C: DBFE0040 4C000018
	ds_read_b128 a[80:83], v24 offset:128                      // 000000003114: DBFE0080 50000018
	ds_read_b128 a[84:87], v24 offset:192                      // 00000000311C: DBFE00C0 54000018
	ds_read_b128 a[88:91], v24 offset:256                      // 000000003124: DBFE0100 58000018
	ds_read_b128 a[92:95], v24 offset:320                      // 00000000312C: DBFE0140 5C000018
	ds_read_b128 a[96:99], v24 offset:384                      // 000000003134: DBFE0180 60000018
	ds_read_b128 a[100:103], v24 offset:448                    // 00000000313C: DBFE01C0 64000018

0000000000003144 <label_0391>:
	s_waitcnt lgkmcnt(0)                                       // 000000003144: BF8CC07F
	s_barrier                                                  // 000000003148: BF8A0000
	ds_write_b32 v22, v170                                     // 00000000314C: D81A0000 0000AA16
	ds_write_b32 v22, v171 offset:64                           // 000000003154: D81A0040 0000AB16
	ds_write_b32 v22, v172 offset:4128                         // 00000000315C: D81A1020 0000AC16
	ds_write_b32 v22, v173 offset:4192                         // 000000003164: D81A1060 0000AD16
	ds_write_b32 v22, v174 offset:8256                         // 00000000316C: D81A2040 0000AE16
	ds_write_b32 v22, v175 offset:8320                         // 000000003174: D81A2080 0000AF16
	ds_write_b32 v22, v176 offset:12384                        // 00000000317C: D81A3060 0000B016
	ds_write_b32 v22, v177 offset:12448                        // 000000003184: D81A30A0 0000B116
	ds_write_b32 v22, v178 offset:512                          // 00000000318C: D81A0200 0000B216
	ds_write_b32 v22, v179 offset:576                          // 000000003194: D81A0240 0000B316
	ds_write_b32 v22, v180 offset:4640                         // 00000000319C: D81A1220 0000B416
	ds_write_b32 v22, v181 offset:4704                         // 0000000031A4: D81A1260 0000B516
	ds_write_b32 v22, v182 offset:8768                         // 0000000031AC: D81A2240 0000B616
	ds_write_b32 v22, v183 offset:8832                         // 0000000031B4: D81A2280 0000B716
	ds_write_b32 v22, v184 offset:12896                        // 0000000031BC: D81A3260 0000B816
	ds_write_b32 v22, v185 offset:12960                        // 0000000031C4: D81A32A0 0000B916
	s_waitcnt lgkmcnt(0)                                       // 0000000031CC: BF8CC07F
	s_barrier                                                  // 0000000031D0: BF8A0000
	ds_read_b64 a[104:105], v25 offset:16512                   // 0000000031D4: DAEC4080 68000019
	ds_read_b64 a[106:107], v25 offset:16520                   // 0000000031DC: DAEC4088 6A000019
	s_cmp_lt_i32 s7, 2                                         // 0000000031E4: BF048207
	s_cbranch_scc1 label_03CB                                  // 0000000031E8: BF850010
	ds_read_b128 a[72:75], v24                                 // 0000000031EC: DBFE0000 48000018
	ds_read_b128 a[76:79], v24 offset:64                       // 0000000031F4: DBFE0040 4C000018
	ds_read_b128 a[80:83], v24 offset:128                      // 0000000031FC: DBFE0080 50000018
	ds_read_b128 a[84:87], v24 offset:192                      // 000000003204: DBFE00C0 54000018
	ds_read_b128 a[88:91], v24 offset:256                      // 00000000320C: DBFE0100 58000018
	ds_read_b128 a[92:95], v24 offset:320                      // 000000003214: DBFE0140 5C000018
	ds_read_b128 a[96:99], v24 offset:384                      // 00000000321C: DBFE0180 60000018
	ds_read_b128 a[100:103], v24 offset:448                    // 000000003224: DBFE01C0 64000018

000000000000322c <label_03CB>:
	s_waitcnt lgkmcnt(0)                                       // 00000000322C: BF8CC07F
	s_barrier                                                  // 000000003230: BF8A0000
	s_cmp_lt_u32 s71, 1                                        // 000000003234: BF0A8147
	s_cbranch_scc1 label_11F0                                  // 000000003238: BF850E21
	s_cmp_lt_i32 s7, 2                                         // 00000000323C: BF048207
	s_cbranch_scc0 label_0AE1                                  // 000000003240: BF840710

0000000000003244 <label_03D1>:
	s_waitcnt vmcnt(16) lgkmcnt(0)                             // 000000003244: BF8C4070
	s_barrier                                                  // 000000003248: BF8A0000
	v_mfma_f32_16x16x32_fp8_fp8 v[82:85], a[72:73], a[0:1], 0  // 00000000324C: D3F30052 1A020148
	ds_write_b32 v22, v186                                     // 000000003254: D81A0000 0000BA16
	ds_write_b32 v22, v187 offset:64                           // 00000000325C: D81A0040 0000BB16
	v_mfma_f32_16x16x32_fp8_fp8 v[82:85], a[74:75], a[2:3], v[82:85]// 000000003264: D3F30052 1D4A054A
	buffer_load_dword v26, v28, s[24:27], 0 offen              // 00000000326C: E0501000 80061A1C
	v_mfma_f32_16x16x32_fp8_fp8 v[82:85], a[76:77], a[4:5], v[82:85]// 000000003274: D3F30052 1D4A094C
	ds_write_b32 v22, v188 offset:4128                         // 00000000327C: D81A1020 0000BC16
	ds_write_b32 v22, v189 offset:4192                         // 000000003284: D81A1060 0000BD16
	v_mfma_f32_16x16x32_fp8_fp8 v[82:85], a[78:79], a[6:7], v[82:85]// 00000000328C: D3F30052 1D4A0D4E
	v_mfma_f32_16x16x32_fp8_fp8 v[82:85], a[80:81], a[8:9], v[82:85]// 000000003294: D3F30052 1D4A1150
	ds_write_b32 v22, v190 offset:8256                         // 00000000329C: D81A2040 0000BE16
	ds_write_b32 v22, v191 offset:8320                         // 0000000032A4: D81A2080 0000BF16
	v_mfma_f32_16x16x32_fp8_fp8 v[82:85], a[82:83], a[10:11], v[82:85]// 0000000032AC: D3F30052 1D4A1552
	v_mfma_f32_16x16x32_fp8_fp8 v[82:85], a[84:85], a[12:13], v[82:85]// 0000000032B4: D3F30052 1D4A1954
	ds_write_b32 v22, v192 offset:12384                        // 0000000032BC: D81A3060 0000C016
	ds_write_b32 v22, v193 offset:12448                        // 0000000032C4: D81A30A0 0000C116
	v_mfma_f32_16x16x32_fp8_fp8 v[82:85], a[86:87], a[14:15], v[82:85]// 0000000032CC: D3F30052 1D4A1D56
	v_mfma_f32_16x16x32_fp8_fp8 v[82:85], a[88:89], a[16:17], v[82:85]// 0000000032D4: D3F30052 1D4A2158
	ds_write_b32 v22, v194 offset:512                          // 0000000032DC: D81A0200 0000C216
	ds_write_b32 v22, v195 offset:576                          // 0000000032E4: D81A0240 0000C316
	v_mfma_f32_16x16x32_fp8_fp8 v[82:85], a[90:91], a[18:19], v[82:85]// 0000000032EC: D3F30052 1D4A255A
	v_mfma_f32_16x16x32_fp8_fp8 v[82:85], a[92:93], a[20:21], v[82:85]// 0000000032F4: D3F30052 1D4A295C
	ds_write_b32 v22, v196 offset:4640                         // 0000000032FC: D81A1220 0000C416
	ds_write_b32 v22, v197 offset:4704                         // 000000003304: D81A1260 0000C516
	v_mfma_f32_16x16x32_fp8_fp8 v[82:85], a[94:95], a[22:23], v[82:85]// 00000000330C: D3F30052 1D4A2D5E
	v_mfma_f32_16x16x32_fp8_fp8 v[82:85], a[96:97], a[24:25], v[82:85]// 000000003314: D3F30052 1D4A3160
	ds_write_b32 v22, v198 offset:8768                         // 00000000331C: D81A2240 0000C616
	ds_write_b32 v22, v199 offset:8832                         // 000000003324: D81A2280 0000C716
	v_mfma_f32_16x16x32_fp8_fp8 v[82:85], a[98:99], a[26:27], v[82:85]// 00000000332C: D3F30052 1D4A3562
	v_mfma_f32_16x16x32_fp8_fp8 v[82:85], a[100:101], a[28:29], v[82:85]// 000000003334: D3F30052 1D4A3964
	ds_write_b32 v22, v200 offset:12896                        // 00000000333C: D81A3260 0000C816
	ds_write_b32 v22, v201 offset:12960                        // 000000003344: D81A32A0 0000C916
	v_mfma_f32_16x16x32_fp8_fp8 v[82:85], a[102:103], a[30:31], v[82:85]// 00000000334C: D3F30052 1D4A3D66
	v_mfma_f32_16x16x32_fp8_fp8 v[82:85], a[104:105], a[32:33], v[82:85]// 000000003354: D3F30052 1D4A4168
	ds_write_b32 v23, v78 offset:16512                         // 00000000335C: D81A4080 00004E17
	ds_write_b32 v23, v79 offset:16584                         // 000000003364: D81A40C8 00004F17
	v_mfma_f32_16x16x32_fp8_fp8 v[82:85], a[106:107], a[34:35], v[82:85]// 00000000336C: D3F30052 1D4A456A
	buffer_load_dword v74, v38, s[20:23], 0 offen              // 000000003374: E0501000 80054A26
	buffer_load_dword v75, v39, s[20:23], 0 offen              // 00000000337C: E0501000 80054B27
	v_add_u32_e32 v28, s73, v28                                // 000000003384: 68383849
	v_mfma_f32_16x16x32_fp8_fp8 v[86:89], a[72:73], a[36:37], 0// 000000003388: D3F30056 1A024948
	v_mfma_f32_16x16x32_fp8_fp8 v[86:89], a[74:75], a[38:39], v[86:89]// 000000003390: D3F30056 1D5A4D4A
	v_mfma_f32_16x16x32_fp8_fp8 v[86:89], a[76:77], a[40:41], v[86:89]// 000000003398: D3F30056 1D5A514C
	v_mfma_f32_16x16x32_fp8_fp8 v[86:89], a[78:79], a[42:43], v[86:89]// 0000000033A0: D3F30056 1D5A554E
	v_mfma_f32_16x16x32_fp8_fp8 v[86:89], a[80:81], a[44:45], v[86:89]// 0000000033A8: D3F30056 1D5A5950
	v_mfma_f32_16x16x32_fp8_fp8 v[86:89], a[82:83], a[46:47], v[86:89]// 0000000033B0: D3F30056 1D5A5D52
	v_mfma_f32_16x16x32_fp8_fp8 v[86:89], a[84:85], a[48:49], v[86:89]// 0000000033B8: D3F30056 1D5A6154
	buffer_load_dword v76, v40, s[20:23], 0 offen              // 0000000033C0: E0501000 80054C28
	buffer_load_dword v77, v41, s[20:23], 0 offen              // 0000000033C8: E0501000 80054D29
	v_mfma_f32_16x16x32_fp8_fp8 v[86:89], a[86:87], a[50:51], v[86:89]// 0000000033D0: D3F30056 1D5A6556
	ds_write_b32 v23, v80 offset:16656                         // 0000000033D8: D81A4110 00005017
	ds_write_b32 v23, v81 offset:16728                         // 0000000033E0: D81A4158 00005117
	v_mfma_f32_16x16x32_fp8_fp8 v[86:89], a[88:89], a[52:53], v[86:89]// 0000000033E8: D3F30056 1D5A6958
	s_waitcnt lgkmcnt(4)                                       // 0000000033F0: BF8CC47F
	s_barrier                                                  // 0000000033F4: BF8A0000
	ds_read_b128 a[72:75], v24                                 // 0000000033F8: DBFE0000 48000018
	v_mfma_f32_16x16x32_fp8_fp8 v[86:89], a[90:91], a[54:55], v[86:89]// 000000003400: D3F30056 1D5A6D5A
	ds_read_b128 a[76:79], v24 offset:64                       // 000000003408: DBFE0040 4C000018
	v_mfma_f32_16x16x32_fp8_fp8 v[86:89], a[92:93], a[56:57], v[86:89]// 000000003410: D3F30056 1D5A715C
	ds_read_b128 a[80:83], v24 offset:128                      // 000000003418: DBFE0080 50000018
	v_mfma_f32_16x16x32_fp8_fp8 v[86:89], a[94:95], a[58:59], v[86:89]// 000000003420: D3F30056 1D5A755E
	ds_read_b128 a[84:87], v24 offset:192                      // 000000003428: DBFE00C0 54000018
	v_mfma_f32_16x16x32_fp8_fp8 v[86:89], a[96:97], a[60:61], v[86:89]// 000000003430: D3F30056 1D5A7960
	ds_read_b128 a[88:91], v24 offset:256                      // 000000003438: DBFE0100 58000018
	v_mfma_f32_16x16x32_fp8_fp8 v[86:89], a[98:99], a[62:63], v[86:89]// 000000003440: D3F30056 1D5A7D62
	ds_read_b128 a[92:95], v24 offset:320                      // 000000003448: DBFE0140 5C000018
	v_mfma_f32_16x16x32_fp8_fp8 v[86:89], a[100:101], a[64:65], v[86:89]// 000000003450: D3F30056 1D5A8164
	ds_read_b128 a[96:99], v24 offset:384                      // 000000003458: DBFE0180 60000018
	v_mfma_f32_16x16x32_fp8_fp8 v[86:89], a[102:103], a[66:67], v[86:89]// 000000003460: D3F30056 1D5A8566
	ds_read_b128 a[100:103], v24 offset:448                    // 000000003468: DBFE01C0 64000018
	v_mfma_f32_16x16x32_fp8_fp8 v[86:89], a[104:105], a[68:69], v[86:89]// 000000003470: D3F30056 1D5A8968
	v_mfma_f32_16x16x32_fp8_fp8 v[86:89], a[106:107], a[70:71], v[86:89]// 000000003478: D3F30056 1D5A8D6A
	s_cmp_le_i32 s83, s82                                      // 000000003480: BF055253
	s_cbranch_scc1 label_0485                                  // 000000003484: BF850023
	s_add_u32 s57, s82, 0                                      // 000000003488: 80398052
	v_mov_b32_e32 v38, s57                                     // 00000000348C: 7E4C0239
	s_sub_u32 s56, s83, 63                                     // 000000003490: 80B8BF53
	s_mul_i32 s57, s7, 16                                      // 000000003494: 92399007
	v_lshrrev_b32_e32 v47, 4, v0                               // 000000003498: 205E0084
	v_mul_i32_i24_e32 v47, 4, v47                              // 00000000349C: 0C5E5E84
	v_add_u32_e32 v47, s56, v47                                // 0000000034A0: 685E5E38
	v_add_u32_e32 v47, s57, v47                                // 0000000034A4: 685E5E39
	v_add_u32_e32 v48, 1, v47                                  // 0000000034A8: 68605E81
	v_add_u32_e32 v49, 2, v47                                  // 0000000034AC: 68625E82
	v_add_u32_e32 v50, 3, v47                                  // 0000000034B0: 68645E83
	v_cmp_le_u32_e64 s[32:33], v47, v38                        // 0000000034B4: D0CB0020 00024D2F
	v_add_u32_e32 v47, 64, v47                                 // 0000000034BC: 685E5EC0
	s_nop 0                                                    // 0000000034C0: BF800000
	v_cndmask_b32_e64 v82, v11, v82, s[32:33]                  // 0000000034C4: D1000052 0082A50B
	v_cmp_le_u32_e64 s[32:33], v48, v38                        // 0000000034CC: D0CB0020 00024D30
	v_add_u32_e32 v48, 64, v48                                 // 0000000034D4: 686060C0
	s_nop 0                                                    // 0000000034D8: BF800000
	v_cndmask_b32_e64 v83, v11, v83, s[32:33]                  // 0000000034DC: D1000053 0082A70B
	v_cmp_le_u32_e64 s[32:33], v49, v38                        // 0000000034E4: D0CB0020 00024D31
	v_add_u32_e32 v49, 64, v49                                 // 0000000034EC: 686262C0
	s_nop 0                                                    // 0000000034F0: BF800000
	v_cndmask_b32_e64 v84, v11, v84, s[32:33]                  // 0000000034F4: D1000054 0082A90B
	v_cmp_le_u32_e64 s[32:33], v50, v38                        // 0000000034FC: D0CB0020 00024D32
	v_add_u32_e32 v50, 64, v50                                 // 000000003504: 686464C0
	s_nop 0                                                    // 000000003508: BF800000
	v_cndmask_b32_e64 v85, v11, v85, s[32:33]                  // 00000000350C: D1000055 0082AB0B

0000000000003514 <label_0485>:
	v_mov_b32_e32 v8, v82                                      // 000000003514: 7E100352
	v_max3_f32 v8, v82, v83, v8                                // 000000003518: D1D30008 0422A752
	v_max3_f32 v8, v84, v85, v8                                // 000000003520: D1D30008 0422AB54
	ds_write_b32 v5, v8 offset:21120                           // 000000003528: D81A5280 00000805
	v_perm_b32 v34, v156, v154, s54                            // 000000003530: D1ED0022 00DB359C
	v_perm_b32 v35, v156, v154, s55                            // 000000003538: D1ED0023 00DF359C
	v_perm_b32 v36, v160, v158, s54                            // 000000003540: D1ED0024 00DB3DA0
	v_perm_b32 v37, v160, v158, s55                            // 000000003548: D1ED0025 00DF3DA0
	v_perm_b32 v218, v36, v34, s53                             // 000000003550: D1ED00DA 00D64524
	v_perm_b32 v219, v36, v34, s52                             // 000000003558: D1ED00DB 00D24524
	v_perm_b32 v220, v37, v35, s53                             // 000000003560: D1ED00DC 00D64725
	v_perm_b32 v221, v37, v35, s52                             // 000000003568: D1ED00DD 00D24725
	v_accvgpr_write_b32 a108, v218                             // 000000003570: D3D9406C 180001DA
	v_accvgpr_write_b32 a112, v219                             // 000000003578: D3D94070 180001DB
	v_accvgpr_write_b32 a116, v220                             // 000000003580: D3D94074 180001DC
	v_accvgpr_write_b32 a120, v221                             // 000000003588: D3D94078 180001DD
	v_perm_b32 v34, v157, v155, s54                            // 000000003590: D1ED0022 00DB379D
	v_perm_b32 v35, v157, v155, s55                            // 000000003598: D1ED0023 00DF379D
	v_perm_b32 v36, v161, v159, s54                            // 0000000035A0: D1ED0024 00DB3FA1
	v_perm_b32 v37, v161, v159, s55                            // 0000000035A8: D1ED0025 00DF3FA1
	v_perm_b32 v218, v36, v34, s53                             // 0000000035B0: D1ED00DA 00D64524
	v_perm_b32 v219, v36, v34, s52                             // 0000000035B8: D1ED00DB 00D24524
	v_perm_b32 v220, v37, v35, s53                             // 0000000035C0: D1ED00DC 00D64725
	v_perm_b32 v221, v37, v35, s52                             // 0000000035C8: D1ED00DD 00D24725
	v_accvgpr_write_b32 a124, v218                             // 0000000035D0: D3D9407C 180001DA
	v_accvgpr_write_b32 a128, v219                             // 0000000035D8: D3D94080 180001DB
	v_accvgpr_write_b32 a132, v220                             // 0000000035E0: D3D94084 180001DC
	v_accvgpr_write_b32 a136, v221                             // 0000000035E8: D3D94088 180001DD
	s_waitcnt lgkmcnt(0)                                       // 0000000035F0: BF8CC07F
	s_barrier                                                  // 0000000035F4: BF8A0000
	v_perm_b32 v34, v164, v162, s54                            // 0000000035F8: D1ED0022 00DB45A4
	v_perm_b32 v35, v164, v162, s55                            // 000000003600: D1ED0023 00DF45A4
	v_perm_b32 v36, v168, v166, s54                            // 000000003608: D1ED0024 00DB4DA8
	v_perm_b32 v37, v168, v166, s55                            // 000000003610: D1ED0025 00DF4DA8
	v_perm_b32 v218, v36, v34, s53                             // 000000003618: D1ED00DA 00D64524
	v_perm_b32 v219, v36, v34, s52                             // 000000003620: D1ED00DB 00D24524
	v_perm_b32 v220, v37, v35, s53                             // 000000003628: D1ED00DC 00D64725
	v_perm_b32 v221, v37, v35, s52                             // 000000003630: D1ED00DD 00D24725
	v_accvgpr_write_b32 a109, v218                             // 000000003638: D3D9406D 180001DA
	v_accvgpr_write_b32 a113, v219                             // 000000003640: D3D94071 180001DB
	v_accvgpr_write_b32 a117, v220                             // 000000003648: D3D94075 180001DC
	v_accvgpr_write_b32 a121, v221                             // 000000003650: D3D94079 180001DD
	ds_read_b32 v58, v4 offset:21120                           // 000000003658: D86C5280 3A000004
	buffer_load_dword v154, v42, s[20:23], 0 offen             // 000000003660: E0501000 80059A2A
	buffer_load_dword v155, v42, s[20:23], 0 offen offset:64   // 000000003668: E0501040 80059B2A
	ds_read_b32 v59, v4 offset:21184                           // 000000003670: D86C52C0 3B000004
	ds_read_b32 v60, v4 offset:21248                           // 000000003678: D86C5300 3C000004
	ds_read_b32 v61, v4 offset:21312                           // 000000003680: D86C5340 3D000004
	ds_read_b32 v62, v4 offset:21376                           // 000000003688: D86C5380 3E000004
	ds_read_b32 v63, v4 offset:21440                           // 000000003690: D86C53C0 3F000004
	ds_read_b32 v64, v4 offset:21504                           // 000000003698: D86C5400 40000004
	ds_read_b32 v65, v4 offset:21568                           // 0000000036A0: D86C5440 41000004
	ds_read_b32 v66, v4 offset:21632                           // 0000000036A8: D86C5480 42000004
	buffer_load_dword v156, v43, s[20:23], 0 offen             // 0000000036B0: E0501000 80059C2B
	buffer_load_dword v157, v43, s[20:23], 0 offen offset:64   // 0000000036B8: E0501040 80059D2B
	ds_read_b32 v67, v4 offset:21696                           // 0000000036C0: D86C54C0 43000004
	ds_read_b32 v68, v4 offset:21760                           // 0000000036C8: D86C5500 44000004
	ds_read_b32 v69, v4 offset:21824                           // 0000000036D0: D86C5540 45000004
	ds_read_b32 v70, v4 offset:21888                           // 0000000036D8: D86C5580 46000004
	ds_read_b32 v71, v4 offset:21952                           // 0000000036E0: D86C55C0 47000004
	ds_read_b32 v72, v4 offset:22016                           // 0000000036E8: D86C5600 48000004
	ds_read_b32 v73, v4 offset:22080                           // 0000000036F0: D86C5640 49000004
	buffer_load_dword v158, v44, s[20:23], 0 offen             // 0000000036F8: E0501000 80059E2C
	buffer_load_dword v159, v44, s[20:23], 0 offen offset:64   // 000000003700: E0501040 80059F2C
	v_perm_b32 v34, v165, v163, s54                            // 000000003708: D1ED0022 00DB47A5
	v_perm_b32 v35, v165, v163, s55                            // 000000003710: D1ED0023 00DF47A5
	v_perm_b32 v36, v169, v167, s54                            // 000000003718: D1ED0024 00DB4FA9
	v_perm_b32 v37, v169, v167, s55                            // 000000003720: D1ED0025 00DF4FA9
	v_perm_b32 v218, v36, v34, s53                             // 000000003728: D1ED00DA 00D64524
	v_perm_b32 v219, v36, v34, s52                             // 000000003730: D1ED00DB 00D24524
	v_perm_b32 v220, v37, v35, s53                             // 000000003738: D1ED00DC 00D64725
	v_perm_b32 v221, v37, v35, s52                             // 000000003740: D1ED00DD 00D24725
	v_accvgpr_write_b32 a125, v218                             // 000000003748: D3D9407D 180001DA
	v_accvgpr_write_b32 a129, v219                             // 000000003750: D3D94081 180001DB
	v_accvgpr_write_b32 a133, v220                             // 000000003758: D3D94085 180001DC
	v_accvgpr_write_b32 a137, v221                             // 000000003760: D3D94089 180001DD
	s_waitcnt lgkmcnt(0)                                       // 000000003768: BF8CC07F
	v_max3_f32 v8, v58, v59, v8                                // 00000000376C: D1D30008 0422773A
	v_max3_f32 v8, v60, v61, v8                                // 000000003774: D1D30008 04227B3C
	v_max3_f32 v8, v62, v63, v8                                // 00000000377C: D1D30008 04227F3E
	v_max3_f32 v8, v64, v65, v8                                // 000000003784: D1D30008 04228340
	v_max3_f32 v8, v66, v67, v8                                // 00000000378C: D1D30008 04228742
	v_max3_f32 v8, v68, v69, v8                                // 000000003794: D1D30008 04228B44
	v_max3_f32 v8, v70, v71, v8                                // 00000000379C: D1D30008 04228F46
	v_max3_f32 v8, v72, v73, v8                                // 0000000037A4: D1D30008 04229348
	buffer_load_dword v160, v45, s[20:23], 0 offen             // 0000000037AC: E0501000 8005A02D
	buffer_load_dword v161, v45, s[20:23], 0 offen offset:64   // 0000000037B4: E0501040 8005A12D
	v_cmp_eq_u32_e64 s[32:33], v11, v12                        // 0000000037BC: D0CA0020 0002190B
	v_max_f32_e32 v14, v8, v12                                 // 0000000037C4: 161C1908
	v_sub_f32_e32 v20, v12, v14                                // 0000000037C8: 04281D0C
	v_cndmask_b32_e64 v20, v20, 0, s[32:33]                    // 0000000037CC: D1000014 00810114
	v_mov_b32_e32 v12, v14                                     // 0000000037D4: 7E18030E
	v_mul_f32_e32 v9, s5, v14                                  // 0000000037D8: 0A121C05
	v_mul_f32_e32 v20, s5, v20                                 // 0000000037DC: 0A282805
	v_exp_f32_e32 v20, v20                                     // 0000000037E0: 7E284114
	buffer_load_dword v162, v46, s[20:23], 0 offen             // 0000000037E4: E0501000 8005A22E
	buffer_load_dword v163, v46, s[20:23], 0 offen offset:64   // 0000000037EC: E0501040 8005A32E
	v_fma_f32 v82, v82, s5, -v9                                // 0000000037F4: D1CB0052 84240B52
	v_fma_f32 v83, v83, s5, -v9                                // 0000000037FC: D1CB0053 84240B53
	v_fma_f32 v84, v84, s5, -v9                                // 000000003804: D1CB0054 84240B54
	v_fma_f32 v85, v85, s5, -v9                                // 00000000380C: D1CB0055 84240B55
	v_exp_f32_e32 v82, v82                                     // 000000003814: 7EA44152
	v_exp_f32_e32 v83, v83                                     // 000000003818: 7EA64153
	v_exp_f32_e32 v84, v84                                     // 00000000381C: 7EA84154
	v_exp_f32_e32 v85, v85                                     // 000000003820: 7EAA4155
	buffer_load_dword v164, v47, s[20:23], 0 offen             // 000000003824: E0501000 8005A42F
	buffer_load_dword v165, v47, s[20:23], 0 offen offset:64   // 00000000382C: E0501040 8005A52F
	v_mul_f32_e32 v15, v20, v15                                // 000000003834: 0A1E1F14
	v_mov_b32_e32 v17, v82                                     // 000000003838: 7E220352
	v_add_f32_e32 v17, v83, v17                                // 00000000383C: 02222353
	v_add_f32_e32 v17, v84, v17                                // 000000003840: 02222354
	v_add_f32_e32 v17, v85, v17                                // 000000003844: 02222355
	v_add_f32_e32 v15, v17, v15                                // 000000003848: 021E1F11
	buffer_load_dword v166, v48, s[20:23], 0 offen             // 00000000384C: E0501000 8005A630
	buffer_load_dword v167, v48, s[20:23], 0 offen offset:64   // 000000003854: E0501040 8005A730
	v_cvt_pk_fp8_f32 v82, v82, v83                             // 00000000385C: D2A20052 0002A752
	v_cvt_pk_fp8_f32 v82, v84, v85 op_sel:[0,0,1]              // 000000003864: D2A24052 0002AB54
	ds_write_b32 v7, v82                                       // 00000000386C: D81A0000 00005207
	buffer_load_dword v168, v49, s[20:23], 0 offen             // 000000003874: E0501000 8005A831
	buffer_load_dword v169, v49, s[20:23], 0 offen offset:64   // 00000000387C: E0501040 8005A931
	s_waitcnt lgkmcnt(0)                                       // 000000003884: BF8CC07F
	s_barrier                                                  // 000000003888: BF8A0000
	ds_read_b64 v[82:83], v6                                   // 00000000388C: D8EC0000 52000006
	ds_read_b64 v[84:85], v6 offset:32                         // 000000003894: D8EC0020 54000006
	v_mov_b32_e32 v34, v20                                     // 00000000389C: 7E440314
	v_mov_b32_e32 v35, v20                                     // 0000000038A0: 7E460314
	v_pk_mul_f32 v[90:91], v[34:35], v[90:91]                  // 0000000038A4: D3B1405A 1802B522
	v_pk_mul_f32 v[92:93], v[34:35], v[92:93]                  // 0000000038AC: D3B1405C 1802B922
	v_pk_mul_f32 v[94:95], v[34:35], v[94:95]                  // 0000000038B4: D3B1405E 1802BD22
	v_pk_mul_f32 v[96:97], v[34:35], v[96:97]                  // 0000000038BC: D3B14060 1802C122
	v_pk_mul_f32 v[98:99], v[34:35], v[98:99]                  // 0000000038C4: D3B14062 1802C522
	v_pk_mul_f32 v[100:101], v[34:35], v[100:101]              // 0000000038CC: D3B14064 1802C922
	v_pk_mul_f32 v[102:103], v[34:35], v[102:103]              // 0000000038D4: D3B14066 1802CD22
	v_pk_mul_f32 v[104:105], v[34:35], v[104:105]              // 0000000038DC: D3B14068 1802D122
	v_pk_mul_f32 v[106:107], v[34:35], v[106:107]              // 0000000038E4: D3B1406A 1802D522
	v_pk_mul_f32 v[108:109], v[34:35], v[108:109]              // 0000000038EC: D3B1406C 1802D922
	v_pk_mul_f32 v[110:111], v[34:35], v[110:111]              // 0000000038F4: D3B1406E 1802DD22
	v_pk_mul_f32 v[112:113], v[34:35], v[112:113]              // 0000000038FC: D3B14070 1802E122
	v_pk_mul_f32 v[114:115], v[34:35], v[114:115]              // 000000003904: D3B14072 1802E522
	v_pk_mul_f32 v[116:117], v[34:35], v[116:117]              // 00000000390C: D3B14074 1802E922
	v_pk_mul_f32 v[118:119], v[34:35], v[118:119]              // 000000003914: D3B14076 1802ED22
	v_pk_mul_f32 v[120:121], v[34:35], v[120:121]              // 00000000391C: D3B14078 1802F122
	s_waitcnt lgkmcnt(0)                                       // 000000003924: BF8CC07F
	s_cmp_le_i32 s83, s82                                      // 000000003928: BF055253
	s_cbranch_scc1 label_05AF                                  // 00000000392C: BF850023
	s_add_u32 s57, s82, 1                                      // 000000003930: 80398152
	v_mov_b32_e32 v38, s57                                     // 000000003934: 7E4C0239
	s_sub_u32 s56, s83, 63                                     // 000000003938: 80B8BF53
	s_mul_i32 s57, s7, 16                                      // 00000000393C: 92399007
	v_lshrrev_b32_e32 v47, 4, v0                               // 000000003940: 205E0084
	v_mul_i32_i24_e32 v47, 4, v47                              // 000000003944: 0C5E5E84
	v_add_u32_e32 v47, s56, v47                                // 000000003948: 685E5E38
	v_add_u32_e32 v47, s57, v47                                // 00000000394C: 685E5E39
	v_add_u32_e32 v48, 1, v47                                  // 000000003950: 68605E81
	v_add_u32_e32 v49, 2, v47                                  // 000000003954: 68625E82
	v_add_u32_e32 v50, 3, v47                                  // 000000003958: 68645E83
	v_cmp_le_u32_e64 s[32:33], v47, v38                        // 00000000395C: D0CB0020 00024D2F
	v_add_u32_e32 v47, 64, v47                                 // 000000003964: 685E5EC0
	s_nop 0                                                    // 000000003968: BF800000
	v_cndmask_b32_e64 v86, v11, v86, s[32:33]                  // 00000000396C: D1000056 0082AD0B
	v_cmp_le_u32_e64 s[32:33], v48, v38                        // 000000003974: D0CB0020 00024D30
	v_add_u32_e32 v48, 64, v48                                 // 00000000397C: 686060C0
	s_nop 0                                                    // 000000003980: BF800000
	v_cndmask_b32_e64 v87, v11, v87, s[32:33]                  // 000000003984: D1000057 0082AF0B
	v_cmp_le_u32_e64 s[32:33], v49, v38                        // 00000000398C: D0CB0020 00024D31
	v_add_u32_e32 v49, 64, v49                                 // 000000003994: 686262C0
	s_nop 0                                                    // 000000003998: BF800000
	v_cndmask_b32_e64 v88, v11, v88, s[32:33]                  // 00000000399C: D1000058 0082B10B
	v_cmp_le_u32_e64 s[32:33], v50, v38                        // 0000000039A4: D0CB0020 00024D32
	v_add_u32_e32 v50, 64, v50                                 // 0000000039AC: 686464C0
	s_nop 0                                                    // 0000000039B0: BF800000
	v_cndmask_b32_e64 v89, v11, v89, s[32:33]                  // 0000000039B4: D1000059 0082B30B

00000000000039bc <label_05AF>:
	s_add_u32 s83, s84, s83                                    // 0000000039BC: 80535354
	v_mov_b32_e32 v8, v86                                      // 0000000039C0: 7E100356
	v_max3_f32 v8, v86, v87, v8                                // 0000000039C4: D1D30008 0422AF56
	v_max3_f32 v8, v88, v89, v8                                // 0000000039CC: D1D30008 0422B358
	ds_write_b32 v5, v8 offset:21120                           // 0000000039D4: D81A5280 00000805
	v_perm_b32 v34, v172, v170, s54                            // 0000000039DC: D1ED0022 00DB55AC
	v_perm_b32 v35, v172, v170, s55                            // 0000000039E4: D1ED0023 00DF55AC
	v_perm_b32 v36, v176, v174, s54                            // 0000000039EC: D1ED0024 00DB5DB0
	v_perm_b32 v37, v176, v174, s55                            // 0000000039F4: D1ED0025 00DF5DB0
	v_perm_b32 v218, v36, v34, s53                             // 0000000039FC: D1ED00DA 00D64524
	v_perm_b32 v219, v36, v34, s52                             // 000000003A04: D1ED00DB 00D24524
	v_perm_b32 v220, v37, v35, s53                             // 000000003A0C: D1ED00DC 00D64725
	v_perm_b32 v221, v37, v35, s52                             // 000000003A14: D1ED00DD 00D24725
	v_accvgpr_write_b32 a110, v218                             // 000000003A1C: D3D9406E 180001DA
	v_accvgpr_write_b32 a114, v219                             // 000000003A24: D3D94072 180001DB
	v_accvgpr_write_b32 a118, v220                             // 000000003A2C: D3D94076 180001DC
	v_accvgpr_write_b32 a122, v221                             // 000000003A34: D3D9407A 180001DD
	v_perm_b32 v34, v173, v171, s54                            // 000000003A3C: D1ED0022 00DB57AD
	v_perm_b32 v35, v173, v171, s55                            // 000000003A44: D1ED0023 00DF57AD
	v_perm_b32 v36, v177, v175, s54                            // 000000003A4C: D1ED0024 00DB5FB1
	v_perm_b32 v37, v177, v175, s55                            // 000000003A54: D1ED0025 00DF5FB1
	v_perm_b32 v218, v36, v34, s53                             // 000000003A5C: D1ED00DA 00D64524
	v_perm_b32 v219, v36, v34, s52                             // 000000003A64: D1ED00DB 00D24524
	v_perm_b32 v220, v37, v35, s53                             // 000000003A6C: D1ED00DC 00D64725
	v_perm_b32 v221, v37, v35, s52                             // 000000003A74: D1ED00DD 00D24725
	v_accvgpr_write_b32 a126, v218                             // 000000003A7C: D3D9407E 180001DA
	v_accvgpr_write_b32 a130, v219                             // 000000003A84: D3D94082 180001DB
	v_accvgpr_write_b32 a134, v220                             // 000000003A8C: D3D94086 180001DC
	v_accvgpr_write_b32 a138, v221                             // 000000003A94: D3D9408A 180001DD
	s_waitcnt lgkmcnt(0)                                       // 000000003A9C: BF8CC07F
	s_barrier                                                  // 000000003AA0: BF8A0000
	v_perm_b32 v34, v180, v178, s54                            // 000000003AA4: D1ED0022 00DB65B4
	v_perm_b32 v35, v180, v178, s55                            // 000000003AAC: D1ED0023 00DF65B4
	v_perm_b32 v36, v184, v182, s54                            // 000000003AB4: D1ED0024 00DB6DB8
	v_perm_b32 v37, v184, v182, s55                            // 000000003ABC: D1ED0025 00DF6DB8
	v_perm_b32 v218, v36, v34, s53                             // 000000003AC4: D1ED00DA 00D64524
	v_perm_b32 v219, v36, v34, s52                             // 000000003ACC: D1ED00DB 00D24524
	v_perm_b32 v220, v37, v35, s53                             // 000000003AD4: D1ED00DC 00D64725
	v_perm_b32 v221, v37, v35, s52                             // 000000003ADC: D1ED00DD 00D24725
	v_accvgpr_write_b32 a111, v218                             // 000000003AE4: D3D9406F 180001DA
	v_accvgpr_write_b32 a115, v219                             // 000000003AEC: D3D94073 180001DB
	v_accvgpr_write_b32 a119, v220                             // 000000003AF4: D3D94077 180001DC
	v_accvgpr_write_b32 a123, v221                             // 000000003AFC: D3D9407B 180001DD
	ds_read_b32 v58, v4 offset:21120                           // 000000003B04: D86C5280 3A000004
	buffer_load_dword v170, v50, s[20:23], 0 offen             // 000000003B0C: E0501000 8005AA32
	buffer_load_dword v171, v50, s[20:23], 0 offen offset:64   // 000000003B14: E0501040 8005AB32
	ds_read_b32 v59, v4 offset:21184                           // 000000003B1C: D86C52C0 3B000004
	ds_read_b32 v60, v4 offset:21248                           // 000000003B24: D86C5300 3C000004
	ds_read_b32 v61, v4 offset:21312                           // 000000003B2C: D86C5340 3D000004
	ds_read_b32 v62, v4 offset:21376                           // 000000003B34: D86C5380 3E000004
	ds_read_b32 v63, v4 offset:21440                           // 000000003B3C: D86C53C0 3F000004
	ds_read_b32 v64, v4 offset:21504                           // 000000003B44: D86C5400 40000004
	ds_read_b32 v65, v4 offset:21568                           // 000000003B4C: D86C5440 41000004
	ds_read_b32 v66, v4 offset:21632                           // 000000003B54: D86C5480 42000004
	buffer_load_dword v172, v51, s[20:23], 0 offen             // 000000003B5C: E0501000 8005AC33
	buffer_load_dword v173, v51, s[20:23], 0 offen offset:64   // 000000003B64: E0501040 8005AD33
	ds_read_b32 v67, v4 offset:21696                           // 000000003B6C: D86C54C0 43000004
	ds_read_b32 v68, v4 offset:21760                           // 000000003B74: D86C5500 44000004
	ds_read_b32 v69, v4 offset:21824                           // 000000003B7C: D86C5540 45000004
	ds_read_b32 v70, v4 offset:21888                           // 000000003B84: D86C5580 46000004
	ds_read_b32 v71, v4 offset:21952                           // 000000003B8C: D86C55C0 47000004
	ds_read_b32 v72, v4 offset:22016                           // 000000003B94: D86C5600 48000004
	ds_read_b32 v73, v4 offset:22080                           // 000000003B9C: D86C5640 49000004
	buffer_load_dword v174, v52, s[20:23], 0 offen             // 000000003BA4: E0501000 8005AE34
	buffer_load_dword v175, v52, s[20:23], 0 offen offset:64   // 000000003BAC: E0501040 8005AF34
	v_perm_b32 v34, v181, v179, s54                            // 000000003BB4: D1ED0022 00DB67B5
	v_perm_b32 v35, v181, v179, s55                            // 000000003BBC: D1ED0023 00DF67B5
	v_perm_b32 v36, v185, v183, s54                            // 000000003BC4: D1ED0024 00DB6FB9
	v_perm_b32 v37, v185, v183, s55                            // 000000003BCC: D1ED0025 00DF6FB9
	v_perm_b32 v218, v36, v34, s53                             // 000000003BD4: D1ED00DA 00D64524
	v_perm_b32 v219, v36, v34, s52                             // 000000003BDC: D1ED00DB 00D24524
	v_perm_b32 v220, v37, v35, s53                             // 000000003BE4: D1ED00DC 00D64725
	v_perm_b32 v221, v37, v35, s52                             // 000000003BEC: D1ED00DD 00D24725
	v_accvgpr_write_b32 a127, v218                             // 000000003BF4: D3D9407F 180001DA
	v_accvgpr_write_b32 a131, v219                             // 000000003BFC: D3D94083 180001DB
	v_accvgpr_write_b32 a135, v220                             // 000000003C04: D3D94087 180001DC
	v_accvgpr_write_b32 a139, v221                             // 000000003C0C: D3D9408B 180001DD
	s_waitcnt lgkmcnt(0)                                       // 000000003C14: BF8CC07F
	v_max3_f32 v8, v58, v59, v8                                // 000000003C18: D1D30008 0422773A
	v_max3_f32 v8, v60, v61, v8                                // 000000003C20: D1D30008 04227B3C
	v_max3_f32 v8, v62, v63, v8                                // 000000003C28: D1D30008 04227F3E
	v_max3_f32 v8, v64, v65, v8                                // 000000003C30: D1D30008 04228340
	v_max3_f32 v8, v66, v67, v8                                // 000000003C38: D1D30008 04228742
	v_max3_f32 v8, v68, v69, v8                                // 000000003C40: D1D30008 04228B44
	v_max3_f32 v8, v70, v71, v8                                // 000000003C48: D1D30008 04228F46
	v_max3_f32 v8, v72, v73, v8                                // 000000003C50: D1D30008 04229348
	buffer_load_dword v176, v53, s[20:23], 0 offen             // 000000003C58: E0501000 8005B035
	buffer_load_dword v177, v53, s[20:23], 0 offen offset:64   // 000000003C60: E0501040 8005B135
	v_cmp_eq_u32_e64 s[32:33], v11, v13                        // 000000003C68: D0CA0020 00021B0B
	v_max_f32_e32 v14, v8, v13                                 // 000000003C70: 161C1B08
	v_sub_f32_e32 v21, v13, v14                                // 000000003C74: 042A1D0D
	v_cndmask_b32_e64 v21, v21, 0, s[32:33]                    // 000000003C78: D1000015 00810115
	v_mov_b32_e32 v13, v14                                     // 000000003C80: 7E1A030E
	v_mul_f32_e32 v9, s5, v14                                  // 000000003C84: 0A121C05
	v_mul_f32_e32 v21, s5, v21                                 // 000000003C88: 0A2A2A05
	v_exp_f32_e32 v21, v21                                     // 000000003C8C: 7E2A4115
	buffer_load_dword v178, v54, s[20:23], 0 offen             // 000000003C90: E0501000 8005B236
	buffer_load_dword v179, v54, s[20:23], 0 offen offset:64   // 000000003C98: E0501040 8005B336
	v_fma_f32 v86, v86, s5, -v9                                // 000000003CA0: D1CB0056 84240B56
	v_fma_f32 v87, v87, s5, -v9                                // 000000003CA8: D1CB0057 84240B57
	v_fma_f32 v88, v88, s5, -v9                                // 000000003CB0: D1CB0058 84240B58
	v_fma_f32 v89, v89, s5, -v9                                // 000000003CB8: D1CB0059 84240B59
	v_exp_f32_e32 v86, v86                                     // 000000003CC0: 7EAC4156
	v_exp_f32_e32 v87, v87                                     // 000000003CC4: 7EAE4157
	v_exp_f32_e32 v88, v88                                     // 000000003CC8: 7EB04158
	v_exp_f32_e32 v89, v89                                     // 000000003CCC: 7EB24159
	buffer_load_dword v180, v55, s[20:23], 0 offen             // 000000003CD0: E0501000 8005B437
	buffer_load_dword v181, v55, s[20:23], 0 offen offset:64   // 000000003CD8: E0501040 8005B537
	v_mul_f32_e32 v16, v21, v16                                // 000000003CE0: 0A202115
	v_mov_b32_e32 v17, v86                                     // 000000003CE4: 7E220356
	v_add_f32_e32 v17, v87, v17                                // 000000003CE8: 02222357
	v_add_f32_e32 v17, v88, v17                                // 000000003CEC: 02222358
	v_add_f32_e32 v17, v89, v17                                // 000000003CF0: 02222359
	v_add_f32_e32 v16, v17, v16                                // 000000003CF4: 02202111
	buffer_load_dword v182, v56, s[20:23], 0 offen             // 000000003CF8: E0501000 8005B638
	buffer_load_dword v183, v56, s[20:23], 0 offen offset:64   // 000000003D00: E0501040 8005B738
	v_cvt_pk_fp8_f32 v86, v86, v87                             // 000000003D08: D2A20056 0002AF56
	v_cvt_pk_fp8_f32 v86, v88, v89 op_sel:[0,0,1]              // 000000003D10: D2A24056 0002B358
	ds_write_b32 v7, v86                                       // 000000003D18: D81A0000 00005607
	buffer_load_dword v184, v57, s[20:23], 0 offen             // 000000003D20: E0501000 8005B839
	buffer_load_dword v185, v57, s[20:23], 0 offen offset:64   // 000000003D28: E0501040 8005B939
	v_mov_b32_e32 v34, v21                                     // 000000003D30: 7E440315
	v_mov_b32_e32 v35, v21                                     // 000000003D34: 7E460315
	v_pk_mul_f32 v[122:123], v[34:35], v[122:123]              // 000000003D38: D3B1407A 1802F522
	v_pk_mul_f32 v[124:125], v[34:35], v[124:125]              // 000000003D40: D3B1407C 1802F922
	v_pk_mul_f32 v[126:127], v[34:35], v[126:127]              // 000000003D48: D3B1407E 1802FD22
	v_pk_mul_f32 v[128:129], v[34:35], v[128:129]              // 000000003D50: D3B14080 18030122
	v_pk_mul_f32 v[130:131], v[34:35], v[130:131]              // 000000003D58: D3B14082 18030522
	v_pk_mul_f32 v[132:133], v[34:35], v[132:133]              // 000000003D60: D3B14084 18030922
	v_pk_mul_f32 v[134:135], v[34:35], v[134:135]              // 000000003D68: D3B14086 18030D22
	v_pk_mul_f32 v[136:137], v[34:35], v[136:137]              // 000000003D70: D3B14088 18031122
	v_pk_mul_f32 v[138:139], v[34:35], v[138:139]              // 000000003D78: D3B1408A 18031522
	v_pk_mul_f32 v[140:141], v[34:35], v[140:141]              // 000000003D80: D3B1408C 18031922
	v_pk_mul_f32 v[142:143], v[34:35], v[142:143]              // 000000003D88: D3B1408E 18031D22
	v_pk_mul_f32 v[144:145], v[34:35], v[144:145]              // 000000003D90: D3B14090 18032122
	v_pk_mul_f32 v[146:147], v[34:35], v[146:147]              // 000000003D98: D3B14092 18032522
	v_pk_mul_f32 v[148:149], v[34:35], v[148:149]              // 000000003DA0: D3B14094 18032922
	v_pk_mul_f32 v[150:151], v[34:35], v[150:151]              // 000000003DA8: D3B14096 18032D22
	v_pk_mul_f32 v[152:153], v[34:35], v[152:153]              // 000000003DB0: D3B14098 18033122
	s_waitcnt lgkmcnt(0)                                       // 000000003DB8: BF8CC07F
	s_barrier                                                  // 000000003DBC: BF8A0000
	ds_read_b64 v[86:87], v6                                   // 000000003DC0: D8EC0000 56000006
	ds_read_b64 v[88:89], v6 offset:32                         // 000000003DC8: D8EC0020 58000006
	v_mul_u32_u24_dpp v42, v27, v10 row_newbcast:0 row_mask:0xf bank_mask:0xf// 000000003DD0: 105414FA FF01501B
	v_mul_u32_u24_dpp v43, v27, v10 row_newbcast:1 row_mask:0xf bank_mask:0xf// 000000003DD8: 105614FA FF01511B
	v_mul_u32_u24_dpp v44, v27, v10 row_newbcast:2 row_mask:0xf bank_mask:0xf// 000000003DE0: 105814FA FF01521B
	v_mul_u32_u24_dpp v45, v27, v10 row_newbcast:3 row_mask:0xf bank_mask:0xf// 000000003DE8: 105A14FA FF01531B
	v_mul_u32_u24_dpp v46, v27, v10 row_newbcast:4 row_mask:0xf bank_mask:0xf// 000000003DF0: 105C14FA FF01541B
	v_mul_u32_u24_dpp v47, v27, v10 row_newbcast:5 row_mask:0xf bank_mask:0xf// 000000003DF8: 105E14FA FF01551B
	v_mul_u32_u24_dpp v48, v27, v10 row_newbcast:6 row_mask:0xf bank_mask:0xf// 000000003E00: 106014FA FF01561B
	v_mul_u32_u24_dpp v49, v27, v10 row_newbcast:7 row_mask:0xf bank_mask:0xf// 000000003E08: 106214FA FF01571B
	v_mul_u32_u24_dpp v50, v27, v10 row_newbcast:8 row_mask:0xf bank_mask:0xf// 000000003E10: 106414FA FF01581B
	v_mul_u32_u24_dpp v51, v27, v10 row_newbcast:9 row_mask:0xf bank_mask:0xf// 000000003E18: 106614FA FF01591B
	v_mul_u32_u24_dpp v52, v27, v10 row_newbcast:10 row_mask:0xf bank_mask:0xf// 000000003E20: 106814FA FF015A1B
	v_mul_u32_u24_dpp v53, v27, v10 row_newbcast:11 row_mask:0xf bank_mask:0xf// 000000003E28: 106A14FA FF015B1B
	v_mul_u32_u24_dpp v54, v27, v10 row_newbcast:12 row_mask:0xf bank_mask:0xf// 000000003E30: 106C14FA FF015C1B
	v_mul_u32_u24_dpp v55, v27, v10 row_newbcast:13 row_mask:0xf bank_mask:0xf// 000000003E38: 106E14FA FF015D1B
	v_mul_u32_u24_dpp v56, v27, v10 row_newbcast:14 row_mask:0xf bank_mask:0xf// 000000003E40: 107014FA FF015E1B
	v_mul_u32_u24_dpp v57, v27, v10 row_newbcast:15 row_mask:0xf bank_mask:0xf// 000000003E48: 107214FA FF015F1B
	s_mov_b32 s56, m0                                          // 000000003E50: BEB8007C
	s_set_gpr_idx_on s51, gpr_idx(SRC0)                        // 000000003E54: BF110133
	v_add_u32_e32 v38, v42, v3                                 // 000000003E58: 684C072A
	v_add_u32_e32 v39, v43, v3                                 // 000000003E5C: 684E072B
	v_add_u32_e32 v40, v44, v3                                 // 000000003E60: 6850072C
	v_add_u32_e32 v41, v45, v3                                 // 000000003E64: 6852072D
	s_set_gpr_idx_off                                          // 000000003E68: BF9C0000
	s_mov_b32 m0, s56                                          // 000000003E6C: BEFC0038
	v_add_u32_e32 v42, v42, v2                                 // 000000003E70: 6854052A
	v_add_u32_e32 v43, v43, v2                                 // 000000003E74: 6856052B
	v_add_u32_e32 v44, v44, v2                                 // 000000003E78: 6858052C
	v_add_u32_e32 v45, v45, v2                                 // 000000003E7C: 685A052D
	v_add_u32_e32 v46, v46, v2                                 // 000000003E80: 685C052E
	v_add_u32_e32 v47, v47, v2                                 // 000000003E84: 685E052F
	v_add_u32_e32 v48, v48, v2                                 // 000000003E88: 68600530
	v_add_u32_e32 v49, v49, v2                                 // 000000003E8C: 68620531
	v_add_u32_e32 v50, v50, v2                                 // 000000003E90: 68640532
	v_add_u32_e32 v51, v51, v2                                 // 000000003E94: 68660533
	v_add_u32_e32 v52, v52, v2                                 // 000000003E98: 68680534
	v_add_u32_e32 v53, v53, v2                                 // 000000003E9C: 686A0535
	v_add_u32_e32 v54, v54, v2                                 // 000000003EA0: 686C0536
	v_add_u32_e32 v55, v55, v2                                 // 000000003EA4: 686E0537
	v_add_u32_e32 v56, v56, v2                                 // 000000003EA8: 68700538
	v_add_u32_e32 v57, v57, v2                                 // 000000003EAC: 68720539
	s_waitcnt lgkmcnt(0)                                       // 000000003EB0: BF8CC07F
	s_waitcnt vmcnt(37)                                        // 000000003EB4: BF8C8F75
	v_mfma_f32_16x16x32_fp8_fp8 v[90:93], a[108:109], v[82:83], v[90:93]// 000000003EB8: D3F3005A 0D6AA56C
	v_mfma_f32_16x16x32_fp8_fp8 v[90:93], a[110:111], v[84:85], v[90:93]// 000000003EC0: D3F3005A 0D6AA96E
	ds_write_b32 v22, v202                                     // 000000003EC8: D81A0000 0000CA16
	ds_write_b32 v22, v203 offset:64                           // 000000003ED0: D81A0040 0000CB16
	v_mfma_f32_16x16x32_fp8_fp8 v[94:97], a[112:113], v[82:83], v[94:97]// 000000003ED8: D3F3005E 0D7AA570
	v_mfma_f32_16x16x32_fp8_fp8 v[94:97], a[114:115], v[84:85], v[94:97]// 000000003EE0: D3F3005E 0D7AA972
	ds_write_b32 v22, v204 offset:4128                         // 000000003EE8: D81A1020 0000CC16
	ds_write_b32 v22, v205 offset:4192                         // 000000003EF0: D81A1060 0000CD16
	v_mfma_f32_16x16x32_fp8_fp8 v[98:101], a[116:117], v[82:83], v[98:101]// 000000003EF8: D3F30062 0D8AA574
	v_mfma_f32_16x16x32_fp8_fp8 v[98:101], a[118:119], v[84:85], v[98:101]// 000000003F00: D3F30062 0D8AA976
	ds_write_b32 v22, v206 offset:8256                         // 000000003F08: D81A2040 0000CE16
	ds_write_b32 v22, v207 offset:8320                         // 000000003F10: D81A2080 0000CF16
	v_mfma_f32_16x16x32_fp8_fp8 v[102:105], a[120:121], v[82:83], v[102:105]// 000000003F18: D3F30066 0D9AA578
	v_mfma_f32_16x16x32_fp8_fp8 v[102:105], a[122:123], v[84:85], v[102:105]// 000000003F20: D3F30066 0D9AA97A
	ds_write_b32 v22, v208 offset:12384                        // 000000003F28: D81A3060 0000D016
	ds_write_b32 v22, v209 offset:12448                        // 000000003F30: D81A30A0 0000D116
	v_mfma_f32_16x16x32_fp8_fp8 v[106:109], a[124:125], v[82:83], v[106:109]// 000000003F38: D3F3006A 0DAAA57C
	v_mfma_f32_16x16x32_fp8_fp8 v[106:109], a[126:127], v[84:85], v[106:109]// 000000003F40: D3F3006A 0DAAA97E
	ds_write_b32 v22, v210 offset:512                          // 000000003F48: D81A0200 0000D216
	ds_write_b32 v22, v211 offset:576                          // 000000003F50: D81A0240 0000D316
	v_mfma_f32_16x16x32_fp8_fp8 v[110:113], a[128:129], v[82:83], v[110:113]// 000000003F58: D3F3006E 0DBAA580
	v_mfma_f32_16x16x32_fp8_fp8 v[110:113], a[130:131], v[84:85], v[110:113]// 000000003F60: D3F3006E 0DBAA982
	ds_write_b32 v22, v212 offset:4640                         // 000000003F68: D81A1220 0000D416
	ds_write_b32 v22, v213 offset:4704                         // 000000003F70: D81A1260 0000D516
	v_mfma_f32_16x16x32_fp8_fp8 v[114:117], a[132:133], v[82:83], v[114:117]// 000000003F78: D3F30072 0DCAA584
	v_mfma_f32_16x16x32_fp8_fp8 v[114:117], a[134:135], v[84:85], v[114:117]// 000000003F80: D3F30072 0DCAA986
	ds_write_b32 v22, v214 offset:8768                         // 000000003F88: D81A2240 0000D616
	ds_write_b32 v22, v215 offset:8832                         // 000000003F90: D81A2280 0000D716
	v_mfma_f32_16x16x32_fp8_fp8 v[118:121], a[136:137], v[82:83], v[118:121]// 000000003F98: D3F30076 0DDAA588
	v_mfma_f32_16x16x32_fp8_fp8 v[118:121], a[138:139], v[84:85], v[118:121]// 000000003FA0: D3F30076 0DDAA98A
	ds_write_b32 v22, v216 offset:12896                        // 000000003FA8: D81A3260 0000D816
	ds_write_b32 v22, v217 offset:12960                        // 000000003FB0: D81A32A0 0000D916
	ds_read_b64 a[104:105], v25 offset:16512                   // 000000003FB8: DAEC4080 68000019
	ds_read_b64 a[106:107], v25 offset:16520                   // 000000003FC0: DAEC4088 6A000019
	v_mfma_f32_16x16x32_fp8_fp8 v[122:125], a[108:109], v[86:87], v[122:125]// 000000003FC8: D3F3007A 0DEAAD6C
	v_mfma_f32_16x16x32_fp8_fp8 v[122:125], a[110:111], v[88:89], v[122:125]// 000000003FD0: D3F3007A 0DEAB16E
	s_waitcnt lgkmcnt(4)                                       // 000000003FD8: BF8CC47F
	s_barrier                                                  // 000000003FDC: BF8A0000
	v_mfma_f32_16x16x32_fp8_fp8 v[126:129], a[112:113], v[86:87], v[126:129]// 000000003FE0: D3F3007E 0DFAAD70
	v_mfma_f32_16x16x32_fp8_fp8 v[126:129], a[114:115], v[88:89], v[126:129]// 000000003FE8: D3F3007E 0DFAB172
	v_mfma_f32_16x16x32_fp8_fp8 v[130:133], a[116:117], v[86:87], v[130:133]// 000000003FF0: D3F30082 0E0AAD74
	v_mfma_f32_16x16x32_fp8_fp8 v[130:133], a[118:119], v[88:89], v[130:133]// 000000003FF8: D3F30082 0E0AB176
	v_mfma_f32_16x16x32_fp8_fp8 v[134:137], a[120:121], v[86:87], v[134:137]// 000000004000: D3F30086 0E1AAD78
	v_mfma_f32_16x16x32_fp8_fp8 v[134:137], a[122:123], v[88:89], v[134:137]// 000000004008: D3F30086 0E1AB17A
	v_mfma_f32_16x16x32_fp8_fp8 v[138:141], a[124:125], v[86:87], v[138:141]// 000000004010: D3F3008A 0E2AAD7C
	v_mfma_f32_16x16x32_fp8_fp8 v[138:141], a[126:127], v[88:89], v[138:141]// 000000004018: D3F3008A 0E2AB17E
	v_mfma_f32_16x16x32_fp8_fp8 v[142:145], a[128:129], v[86:87], v[142:145]// 000000004020: D3F3008E 0E3AAD80
	v_mfma_f32_16x16x32_fp8_fp8 v[142:145], a[130:131], v[88:89], v[142:145]// 000000004028: D3F3008E 0E3AB182
	v_mfma_f32_16x16x32_fp8_fp8 v[146:149], a[132:133], v[86:87], v[146:149]// 000000004030: D3F30092 0E4AAD84
	v_mfma_f32_16x16x32_fp8_fp8 v[146:149], a[134:135], v[88:89], v[146:149]// 000000004038: D3F30092 0E4AB186
	v_mfma_f32_16x16x32_fp8_fp8 v[150:153], a[136:137], v[86:87], v[150:153]// 000000004040: D3F30096 0E5AAD88
	v_mfma_f32_16x16x32_fp8_fp8 v[150:153], a[138:139], v[88:89], v[150:153]// 000000004048: D3F30096 0E5AB18A
	s_addk_i32 s70, 0x1                                        // 000000004050: B7460001
	s_cmp_lt_i32 s70, s71                                      // 000000004054: BF044746
	s_cbranch_scc0 label_0ADE                                  // 000000004058: BF840387
	s_waitcnt vmcnt(16) lgkmcnt(0)                             // 00000000405C: BF8C4070
	s_barrier                                                  // 000000004060: BF8A0000
	v_mfma_f32_16x16x32_fp8_fp8 v[82:85], a[72:73], a[0:1], 0  // 000000004064: D3F30052 1A020148
	ds_write_b32 v22, v154                                     // 00000000406C: D81A0000 00009A16
	ds_write_b32 v22, v155 offset:64                           // 000000004074: D81A0040 00009B16
	v_mfma_f32_16x16x32_fp8_fp8 v[82:85], a[74:75], a[2:3], v[82:85]// 00000000407C: D3F30052 1D4A054A
	buffer_load_dword v27, v28, s[24:27], 0 offen              // 000000004084: E0501000 80061B1C
	v_mfma_f32_16x16x32_fp8_fp8 v[82:85], a[76:77], a[4:5], v[82:85]// 00000000408C: D3F30052 1D4A094C
	ds_write_b32 v22, v156 offset:4128                         // 000000004094: D81A1020 00009C16
	ds_write_b32 v22, v157 offset:4192                         // 00000000409C: D81A1060 00009D16
	v_mfma_f32_16x16x32_fp8_fp8 v[82:85], a[78:79], a[6:7], v[82:85]// 0000000040A4: D3F30052 1D4A0D4E
	v_mfma_f32_16x16x32_fp8_fp8 v[82:85], a[80:81], a[8:9], v[82:85]// 0000000040AC: D3F30052 1D4A1150
	ds_write_b32 v22, v158 offset:8256                         // 0000000040B4: D81A2040 00009E16
	ds_write_b32 v22, v159 offset:8320                         // 0000000040BC: D81A2080 00009F16
	v_mfma_f32_16x16x32_fp8_fp8 v[82:85], a[82:83], a[10:11], v[82:85]// 0000000040C4: D3F30052 1D4A1552
	v_mfma_f32_16x16x32_fp8_fp8 v[82:85], a[84:85], a[12:13], v[82:85]// 0000000040CC: D3F30052 1D4A1954
	ds_write_b32 v22, v160 offset:12384                        // 0000000040D4: D81A3060 0000A016
	ds_write_b32 v22, v161 offset:12448                        // 0000000040DC: D81A30A0 0000A116
	v_mfma_f32_16x16x32_fp8_fp8 v[82:85], a[86:87], a[14:15], v[82:85]// 0000000040E4: D3F30052 1D4A1D56
	v_mfma_f32_16x16x32_fp8_fp8 v[82:85], a[88:89], a[16:17], v[82:85]// 0000000040EC: D3F30052 1D4A2158
	ds_write_b32 v22, v162 offset:512                          // 0000000040F4: D81A0200 0000A216
	ds_write_b32 v22, v163 offset:576                          // 0000000040FC: D81A0240 0000A316
	v_mfma_f32_16x16x32_fp8_fp8 v[82:85], a[90:91], a[18:19], v[82:85]// 000000004104: D3F30052 1D4A255A
	v_mfma_f32_16x16x32_fp8_fp8 v[82:85], a[92:93], a[20:21], v[82:85]// 00000000410C: D3F30052 1D4A295C
	ds_write_b32 v22, v164 offset:4640                         // 000000004114: D81A1220 0000A416
	ds_write_b32 v22, v165 offset:4704                         // 00000000411C: D81A1260 0000A516
	v_mfma_f32_16x16x32_fp8_fp8 v[82:85], a[94:95], a[22:23], v[82:85]// 000000004124: D3F30052 1D4A2D5E
	v_mfma_f32_16x16x32_fp8_fp8 v[82:85], a[96:97], a[24:25], v[82:85]// 00000000412C: D3F30052 1D4A3160
	ds_write_b32 v22, v166 offset:8768                         // 000000004134: D81A2240 0000A616
	ds_write_b32 v22, v167 offset:8832                         // 00000000413C: D81A2280 0000A716
	v_mfma_f32_16x16x32_fp8_fp8 v[82:85], a[98:99], a[26:27], v[82:85]// 000000004144: D3F30052 1D4A3562
	v_mfma_f32_16x16x32_fp8_fp8 v[82:85], a[100:101], a[28:29], v[82:85]// 00000000414C: D3F30052 1D4A3964
	ds_write_b32 v22, v168 offset:12896                        // 000000004154: D81A3260 0000A816
	ds_write_b32 v22, v169 offset:12960                        // 00000000415C: D81A32A0 0000A916
	v_mfma_f32_16x16x32_fp8_fp8 v[82:85], a[102:103], a[30:31], v[82:85]// 000000004164: D3F30052 1D4A3D66
	v_mfma_f32_16x16x32_fp8_fp8 v[82:85], a[104:105], a[32:33], v[82:85]// 00000000416C: D3F30052 1D4A4168
	ds_write_b32 v23, v74 offset:16512                         // 000000004174: D81A4080 00004A17
	ds_write_b32 v23, v75 offset:16584                         // 00000000417C: D81A40C8 00004B17
	v_mfma_f32_16x16x32_fp8_fp8 v[82:85], a[106:107], a[34:35], v[82:85]// 000000004184: D3F30052 1D4A456A
	buffer_load_dword v78, v38, s[20:23], 0 offen              // 00000000418C: E0501000 80054E26
	buffer_load_dword v79, v39, s[20:23], 0 offen              // 000000004194: E0501000 80054F27
	v_add_u32_e32 v28, s73, v28                                // 00000000419C: 68383849
	v_mfma_f32_16x16x32_fp8_fp8 v[86:89], a[72:73], a[36:37], 0// 0000000041A0: D3F30056 1A024948
	v_mfma_f32_16x16x32_fp8_fp8 v[86:89], a[74:75], a[38:39], v[86:89]// 0000000041A8: D3F30056 1D5A4D4A
	v_mfma_f32_16x16x32_fp8_fp8 v[86:89], a[76:77], a[40:41], v[86:89]// 0000000041B0: D3F30056 1D5A514C
	v_mfma_f32_16x16x32_fp8_fp8 v[86:89], a[78:79], a[42:43], v[86:89]// 0000000041B8: D3F30056 1D5A554E
	v_mfma_f32_16x16x32_fp8_fp8 v[86:89], a[80:81], a[44:45], v[86:89]// 0000000041C0: D3F30056 1D5A5950
	v_mfma_f32_16x16x32_fp8_fp8 v[86:89], a[82:83], a[46:47], v[86:89]// 0000000041C8: D3F30056 1D5A5D52
	v_mfma_f32_16x16x32_fp8_fp8 v[86:89], a[84:85], a[48:49], v[86:89]// 0000000041D0: D3F30056 1D5A6154
	buffer_load_dword v80, v40, s[20:23], 0 offen              // 0000000041D8: E0501000 80055028
	buffer_load_dword v81, v41, s[20:23], 0 offen              // 0000000041E0: E0501000 80055129
	v_mfma_f32_16x16x32_fp8_fp8 v[86:89], a[86:87], a[50:51], v[86:89]// 0000000041E8: D3F30056 1D5A6556
	ds_write_b32 v23, v76 offset:16656                         // 0000000041F0: D81A4110 00004C17
	ds_write_b32 v23, v77 offset:16728                         // 0000000041F8: D81A4158 00004D17
	v_mfma_f32_16x16x32_fp8_fp8 v[86:89], a[88:89], a[52:53], v[86:89]// 000000004200: D3F30056 1D5A6958
	s_waitcnt lgkmcnt(4)                                       // 000000004208: BF8CC47F
	s_barrier                                                  // 00000000420C: BF8A0000
	ds_read_b128 a[72:75], v24                                 // 000000004210: DBFE0000 48000018
	v_mfma_f32_16x16x32_fp8_fp8 v[86:89], a[90:91], a[54:55], v[86:89]// 000000004218: D3F30056 1D5A6D5A
	ds_read_b128 a[76:79], v24 offset:64                       // 000000004220: DBFE0040 4C000018
	v_mfma_f32_16x16x32_fp8_fp8 v[86:89], a[92:93], a[56:57], v[86:89]// 000000004228: D3F30056 1D5A715C
	ds_read_b128 a[80:83], v24 offset:128                      // 000000004230: DBFE0080 50000018
	v_mfma_f32_16x16x32_fp8_fp8 v[86:89], a[94:95], a[58:59], v[86:89]// 000000004238: D3F30056 1D5A755E
	ds_read_b128 a[84:87], v24 offset:192                      // 000000004240: DBFE00C0 54000018
	v_mfma_f32_16x16x32_fp8_fp8 v[86:89], a[96:97], a[60:61], v[86:89]// 000000004248: D3F30056 1D5A7960
	ds_read_b128 a[88:91], v24 offset:256                      // 000000004250: DBFE0100 58000018
	v_mfma_f32_16x16x32_fp8_fp8 v[86:89], a[98:99], a[62:63], v[86:89]// 000000004258: D3F30056 1D5A7D62
	ds_read_b128 a[92:95], v24 offset:320                      // 000000004260: DBFE0140 5C000018
	v_mfma_f32_16x16x32_fp8_fp8 v[86:89], a[100:101], a[64:65], v[86:89]// 000000004268: D3F30056 1D5A8164
	ds_read_b128 a[96:99], v24 offset:384                      // 000000004270: DBFE0180 60000018
	v_mfma_f32_16x16x32_fp8_fp8 v[86:89], a[102:103], a[66:67], v[86:89]// 000000004278: D3F30056 1D5A8566
	ds_read_b128 a[100:103], v24 offset:448                    // 000000004280: DBFE01C0 64000018
	v_mfma_f32_16x16x32_fp8_fp8 v[86:89], a[104:105], a[68:69], v[86:89]// 000000004288: D3F30056 1D5A8968
	v_mfma_f32_16x16x32_fp8_fp8 v[86:89], a[106:107], a[70:71], v[86:89]// 000000004290: D3F30056 1D5A8D6A
	s_cmp_le_i32 s83, s82                                      // 000000004298: BF055253
	s_cbranch_scc1 label_080B                                  // 00000000429C: BF850023
	s_add_u32 s57, s82, 0                                      // 0000000042A0: 80398052
	v_mov_b32_e32 v38, s57                                     // 0000000042A4: 7E4C0239
	s_sub_u32 s56, s83, 63                                     // 0000000042A8: 80B8BF53
	s_mul_i32 s57, s7, 16                                      // 0000000042AC: 92399007
	v_lshrrev_b32_e32 v47, 4, v0                               // 0000000042B0: 205E0084
	v_mul_i32_i24_e32 v47, 4, v47                              // 0000000042B4: 0C5E5E84
	v_add_u32_e32 v47, s56, v47                                // 0000000042B8: 685E5E38
	v_add_u32_e32 v47, s57, v47                                // 0000000042BC: 685E5E39
	v_add_u32_e32 v48, 1, v47                                  // 0000000042C0: 68605E81
	v_add_u32_e32 v49, 2, v47                                  // 0000000042C4: 68625E82
	v_add_u32_e32 v50, 3, v47                                  // 0000000042C8: 68645E83
	v_cmp_le_u32_e64 s[32:33], v47, v38                        // 0000000042CC: D0CB0020 00024D2F
	v_add_u32_e32 v47, 64, v47                                 // 0000000042D4: 685E5EC0
	s_nop 0                                                    // 0000000042D8: BF800000
	v_cndmask_b32_e64 v82, v11, v82, s[32:33]                  // 0000000042DC: D1000052 0082A50B
	v_cmp_le_u32_e64 s[32:33], v48, v38                        // 0000000042E4: D0CB0020 00024D30
	v_add_u32_e32 v48, 64, v48                                 // 0000000042EC: 686060C0
	s_nop 0                                                    // 0000000042F0: BF800000
	v_cndmask_b32_e64 v83, v11, v83, s[32:33]                  // 0000000042F4: D1000053 0082A70B
	v_cmp_le_u32_e64 s[32:33], v49, v38                        // 0000000042FC: D0CB0020 00024D31
	v_add_u32_e32 v49, 64, v49                                 // 000000004304: 686262C0
	s_nop 0                                                    // 000000004308: BF800000
	v_cndmask_b32_e64 v84, v11, v84, s[32:33]                  // 00000000430C: D1000054 0082A90B
	v_cmp_le_u32_e64 s[32:33], v50, v38                        // 000000004314: D0CB0020 00024D32
	v_add_u32_e32 v50, 64, v50                                 // 00000000431C: 686464C0
	s_nop 0                                                    // 000000004320: BF800000
	v_cndmask_b32_e64 v85, v11, v85, s[32:33]                  // 000000004324: D1000055 0082AB0B

000000000000432c <label_080B>:
	v_mov_b32_e32 v8, v82                                      // 00000000432C: 7E100352
	v_max3_f32 v8, v82, v83, v8                                // 000000004330: D1D30008 0422A752
	v_max3_f32 v8, v84, v85, v8                                // 000000004338: D1D30008 0422AB54
	ds_write_b32 v5, v8 offset:21120                           // 000000004340: D81A5280 00000805
	v_perm_b32 v34, v188, v186, s54                            // 000000004348: D1ED0022 00DB75BC
	v_perm_b32 v35, v188, v186, s55                            // 000000004350: D1ED0023 00DF75BC
	v_perm_b32 v36, v192, v190, s54                            // 000000004358: D1ED0024 00DB7DC0
	v_perm_b32 v37, v192, v190, s55                            // 000000004360: D1ED0025 00DF7DC0
	v_perm_b32 v218, v36, v34, s53                             // 000000004368: D1ED00DA 00D64524
	v_perm_b32 v219, v36, v34, s52                             // 000000004370: D1ED00DB 00D24524
	v_perm_b32 v220, v37, v35, s53                             // 000000004378: D1ED00DC 00D64725
	v_perm_b32 v221, v37, v35, s52                             // 000000004380: D1ED00DD 00D24725
	v_accvgpr_write_b32 a108, v218                             // 000000004388: D3D9406C 180001DA
	v_accvgpr_write_b32 a112, v219                             // 000000004390: D3D94070 180001DB
	v_accvgpr_write_b32 a116, v220                             // 000000004398: D3D94074 180001DC
	v_accvgpr_write_b32 a120, v221                             // 0000000043A0: D3D94078 180001DD
	v_perm_b32 v34, v189, v187, s54                            // 0000000043A8: D1ED0022 00DB77BD
	v_perm_b32 v35, v189, v187, s55                            // 0000000043B0: D1ED0023 00DF77BD
	v_perm_b32 v36, v193, v191, s54                            // 0000000043B8: D1ED0024 00DB7FC1
	v_perm_b32 v37, v193, v191, s55                            // 0000000043C0: D1ED0025 00DF7FC1
	v_perm_b32 v218, v36, v34, s53                             // 0000000043C8: D1ED00DA 00D64524
	v_perm_b32 v219, v36, v34, s52                             // 0000000043D0: D1ED00DB 00D24524
	v_perm_b32 v220, v37, v35, s53                             // 0000000043D8: D1ED00DC 00D64725
	v_perm_b32 v221, v37, v35, s52                             // 0000000043E0: D1ED00DD 00D24725
	v_accvgpr_write_b32 a124, v218                             // 0000000043E8: D3D9407C 180001DA
	v_accvgpr_write_b32 a128, v219                             // 0000000043F0: D3D94080 180001DB
	v_accvgpr_write_b32 a132, v220                             // 0000000043F8: D3D94084 180001DC
	v_accvgpr_write_b32 a136, v221                             // 000000004400: D3D94088 180001DD
	s_waitcnt lgkmcnt(0)                                       // 000000004408: BF8CC07F
	s_barrier                                                  // 00000000440C: BF8A0000
	v_perm_b32 v34, v196, v194, s54                            // 000000004410: D1ED0022 00DB85C4
	v_perm_b32 v35, v196, v194, s55                            // 000000004418: D1ED0023 00DF85C4
	v_perm_b32 v36, v200, v198, s54                            // 000000004420: D1ED0024 00DB8DC8
	v_perm_b32 v37, v200, v198, s55                            // 000000004428: D1ED0025 00DF8DC8
	v_perm_b32 v218, v36, v34, s53                             // 000000004430: D1ED00DA 00D64524
	v_perm_b32 v219, v36, v34, s52                             // 000000004438: D1ED00DB 00D24524
	v_perm_b32 v220, v37, v35, s53                             // 000000004440: D1ED00DC 00D64725
	v_perm_b32 v221, v37, v35, s52                             // 000000004448: D1ED00DD 00D24725
	v_accvgpr_write_b32 a109, v218                             // 000000004450: D3D9406D 180001DA
	v_accvgpr_write_b32 a113, v219                             // 000000004458: D3D94071 180001DB
	v_accvgpr_write_b32 a117, v220                             // 000000004460: D3D94075 180001DC
	v_accvgpr_write_b32 a121, v221                             // 000000004468: D3D94079 180001DD
	ds_read_b32 v58, v4 offset:21120                           // 000000004470: D86C5280 3A000004
	buffer_load_dword v186, v42, s[20:23], 0 offen             // 000000004478: E0501000 8005BA2A
	buffer_load_dword v187, v42, s[20:23], 0 offen offset:64   // 000000004480: E0501040 8005BB2A
	ds_read_b32 v59, v4 offset:21184                           // 000000004488: D86C52C0 3B000004
	ds_read_b32 v60, v4 offset:21248                           // 000000004490: D86C5300 3C000004
	ds_read_b32 v61, v4 offset:21312                           // 000000004498: D86C5340 3D000004
	ds_read_b32 v62, v4 offset:21376                           // 0000000044A0: D86C5380 3E000004
	ds_read_b32 v63, v4 offset:21440                           // 0000000044A8: D86C53C0 3F000004
	ds_read_b32 v64, v4 offset:21504                           // 0000000044B0: D86C5400 40000004
	ds_read_b32 v65, v4 offset:21568                           // 0000000044B8: D86C5440 41000004
	ds_read_b32 v66, v4 offset:21632                           // 0000000044C0: D86C5480 42000004
	buffer_load_dword v188, v43, s[20:23], 0 offen             // 0000000044C8: E0501000 8005BC2B
	buffer_load_dword v189, v43, s[20:23], 0 offen offset:64   // 0000000044D0: E0501040 8005BD2B
	ds_read_b32 v67, v4 offset:21696                           // 0000000044D8: D86C54C0 43000004
	ds_read_b32 v68, v4 offset:21760                           // 0000000044E0: D86C5500 44000004
	ds_read_b32 v69, v4 offset:21824                           // 0000000044E8: D86C5540 45000004
	ds_read_b32 v70, v4 offset:21888                           // 0000000044F0: D86C5580 46000004
	ds_read_b32 v71, v4 offset:21952                           // 0000000044F8: D86C55C0 47000004
	ds_read_b32 v72, v4 offset:22016                           // 000000004500: D86C5600 48000004
	ds_read_b32 v73, v4 offset:22080                           // 000000004508: D86C5640 49000004
	buffer_load_dword v190, v44, s[20:23], 0 offen             // 000000004510: E0501000 8005BE2C
	buffer_load_dword v191, v44, s[20:23], 0 offen offset:64   // 000000004518: E0501040 8005BF2C
	v_perm_b32 v34, v197, v195, s54                            // 000000004520: D1ED0022 00DB87C5
	v_perm_b32 v35, v197, v195, s55                            // 000000004528: D1ED0023 00DF87C5
	v_perm_b32 v36, v201, v199, s54                            // 000000004530: D1ED0024 00DB8FC9
	v_perm_b32 v37, v201, v199, s55                            // 000000004538: D1ED0025 00DF8FC9
	v_perm_b32 v218, v36, v34, s53                             // 000000004540: D1ED00DA 00D64524
	v_perm_b32 v219, v36, v34, s52                             // 000000004548: D1ED00DB 00D24524
	v_perm_b32 v220, v37, v35, s53                             // 000000004550: D1ED00DC 00D64725
	v_perm_b32 v221, v37, v35, s52                             // 000000004558: D1ED00DD 00D24725
	v_accvgpr_write_b32 a125, v218                             // 000000004560: D3D9407D 180001DA
	v_accvgpr_write_b32 a129, v219                             // 000000004568: D3D94081 180001DB
	v_accvgpr_write_b32 a133, v220                             // 000000004570: D3D94085 180001DC
	v_accvgpr_write_b32 a137, v221                             // 000000004578: D3D94089 180001DD
	s_waitcnt lgkmcnt(0)                                       // 000000004580: BF8CC07F
	v_max3_f32 v8, v58, v59, v8                                // 000000004584: D1D30008 0422773A
	v_max3_f32 v8, v60, v61, v8                                // 00000000458C: D1D30008 04227B3C
	v_max3_f32 v8, v62, v63, v8                                // 000000004594: D1D30008 04227F3E
	v_max3_f32 v8, v64, v65, v8                                // 00000000459C: D1D30008 04228340
	v_max3_f32 v8, v66, v67, v8                                // 0000000045A4: D1D30008 04228742
	v_max3_f32 v8, v68, v69, v8                                // 0000000045AC: D1D30008 04228B44
	v_max3_f32 v8, v70, v71, v8                                // 0000000045B4: D1D30008 04228F46
	v_max3_f32 v8, v72, v73, v8                                // 0000000045BC: D1D30008 04229348
	buffer_load_dword v192, v45, s[20:23], 0 offen             // 0000000045C4: E0501000 8005C02D
	buffer_load_dword v193, v45, s[20:23], 0 offen offset:64   // 0000000045CC: E0501040 8005C12D
	v_cmp_eq_u32_e64 s[32:33], v11, v12                        // 0000000045D4: D0CA0020 0002190B
	v_max_f32_e32 v14, v8, v12                                 // 0000000045DC: 161C1908
	v_sub_f32_e32 v20, v12, v14                                // 0000000045E0: 04281D0C
	v_cndmask_b32_e64 v20, v20, 0, s[32:33]                    // 0000000045E4: D1000014 00810114
	v_mov_b32_e32 v12, v14                                     // 0000000045EC: 7E18030E
	v_mul_f32_e32 v9, s5, v14                                  // 0000000045F0: 0A121C05
	v_mul_f32_e32 v20, s5, v20                                 // 0000000045F4: 0A282805
	v_exp_f32_e32 v20, v20                                     // 0000000045F8: 7E284114
	buffer_load_dword v194, v46, s[20:23], 0 offen             // 0000000045FC: E0501000 8005C22E
	buffer_load_dword v195, v46, s[20:23], 0 offen offset:64   // 000000004604: E0501040 8005C32E
	v_fma_f32 v82, v82, s5, -v9                                // 00000000460C: D1CB0052 84240B52
	v_fma_f32 v83, v83, s5, -v9                                // 000000004614: D1CB0053 84240B53
	v_fma_f32 v84, v84, s5, -v9                                // 00000000461C: D1CB0054 84240B54
	v_fma_f32 v85, v85, s5, -v9                                // 000000004624: D1CB0055 84240B55
	v_exp_f32_e32 v82, v82                                     // 00000000462C: 7EA44152
	v_exp_f32_e32 v83, v83                                     // 000000004630: 7EA64153
	v_exp_f32_e32 v84, v84                                     // 000000004634: 7EA84154
	v_exp_f32_e32 v85, v85                                     // 000000004638: 7EAA4155
	buffer_load_dword v196, v47, s[20:23], 0 offen             // 00000000463C: E0501000 8005C42F
	buffer_load_dword v197, v47, s[20:23], 0 offen offset:64   // 000000004644: E0501040 8005C52F
	v_mul_f32_e32 v15, v20, v15                                // 00000000464C: 0A1E1F14
	v_mov_b32_e32 v17, v82                                     // 000000004650: 7E220352
	v_add_f32_e32 v17, v83, v17                                // 000000004654: 02222353
	v_add_f32_e32 v17, v84, v17                                // 000000004658: 02222354
	v_add_f32_e32 v17, v85, v17                                // 00000000465C: 02222355
	v_add_f32_e32 v15, v17, v15                                // 000000004660: 021E1F11
	buffer_load_dword v198, v48, s[20:23], 0 offen             // 000000004664: E0501000 8005C630
	buffer_load_dword v199, v48, s[20:23], 0 offen offset:64   // 00000000466C: E0501040 8005C730
	v_cvt_pk_fp8_f32 v82, v82, v83                             // 000000004674: D2A20052 0002A752
	v_cvt_pk_fp8_f32 v82, v84, v85 op_sel:[0,0,1]              // 00000000467C: D2A24052 0002AB54
	ds_write_b32 v7, v82                                       // 000000004684: D81A0000 00005207
	buffer_load_dword v200, v49, s[20:23], 0 offen             // 00000000468C: E0501000 8005C831
	buffer_load_dword v201, v49, s[20:23], 0 offen offset:64   // 000000004694: E0501040 8005C931
	s_waitcnt lgkmcnt(0)                                       // 00000000469C: BF8CC07F
	s_barrier                                                  // 0000000046A0: BF8A0000
	ds_read_b64 v[82:83], v6                                   // 0000000046A4: D8EC0000 52000006
	ds_read_b64 v[84:85], v6 offset:32                         // 0000000046AC: D8EC0020 54000006
	v_mov_b32_e32 v34, v20                                     // 0000000046B4: 7E440314
	v_mov_b32_e32 v35, v20                                     // 0000000046B8: 7E460314
	v_pk_mul_f32 v[90:91], v[34:35], v[90:91]                  // 0000000046BC: D3B1405A 1802B522
	v_pk_mul_f32 v[92:93], v[34:35], v[92:93]                  // 0000000046C4: D3B1405C 1802B922
	v_pk_mul_f32 v[94:95], v[34:35], v[94:95]                  // 0000000046CC: D3B1405E 1802BD22
	v_pk_mul_f32 v[96:97], v[34:35], v[96:97]                  // 0000000046D4: D3B14060 1802C122
	v_pk_mul_f32 v[98:99], v[34:35], v[98:99]                  // 0000000046DC: D3B14062 1802C522
	v_pk_mul_f32 v[100:101], v[34:35], v[100:101]              // 0000000046E4: D3B14064 1802C922
	v_pk_mul_f32 v[102:103], v[34:35], v[102:103]              // 0000000046EC: D3B14066 1802CD22
	v_pk_mul_f32 v[104:105], v[34:35], v[104:105]              // 0000000046F4: D3B14068 1802D122
	v_pk_mul_f32 v[106:107], v[34:35], v[106:107]              // 0000000046FC: D3B1406A 1802D522
	v_pk_mul_f32 v[108:109], v[34:35], v[108:109]              // 000000004704: D3B1406C 1802D922
	v_pk_mul_f32 v[110:111], v[34:35], v[110:111]              // 00000000470C: D3B1406E 1802DD22
	v_pk_mul_f32 v[112:113], v[34:35], v[112:113]              // 000000004714: D3B14070 1802E122
	v_pk_mul_f32 v[114:115], v[34:35], v[114:115]              // 00000000471C: D3B14072 1802E522
	v_pk_mul_f32 v[116:117], v[34:35], v[116:117]              // 000000004724: D3B14074 1802E922
	v_pk_mul_f32 v[118:119], v[34:35], v[118:119]              // 00000000472C: D3B14076 1802ED22
	v_pk_mul_f32 v[120:121], v[34:35], v[120:121]              // 000000004734: D3B14078 1802F122
	s_waitcnt lgkmcnt(0)                                       // 00000000473C: BF8CC07F
	s_cmp_le_i32 s83, s82                                      // 000000004740: BF055253
	s_cbranch_scc1 label_0935                                  // 000000004744: BF850023
	s_add_u32 s57, s82, 1                                      // 000000004748: 80398152
	v_mov_b32_e32 v38, s57                                     // 00000000474C: 7E4C0239
	s_sub_u32 s56, s83, 63                                     // 000000004750: 80B8BF53
	s_mul_i32 s57, s7, 16                                      // 000000004754: 92399007
	v_lshrrev_b32_e32 v47, 4, v0                               // 000000004758: 205E0084
	v_mul_i32_i24_e32 v47, 4, v47                              // 00000000475C: 0C5E5E84
	v_add_u32_e32 v47, s56, v47                                // 000000004760: 685E5E38
	v_add_u32_e32 v47, s57, v47                                // 000000004764: 685E5E39
	v_add_u32_e32 v48, 1, v47                                  // 000000004768: 68605E81
	v_add_u32_e32 v49, 2, v47                                  // 00000000476C: 68625E82
	v_add_u32_e32 v50, 3, v47                                  // 000000004770: 68645E83
	v_cmp_le_u32_e64 s[32:33], v47, v38                        // 000000004774: D0CB0020 00024D2F
	v_add_u32_e32 v47, 64, v47                                 // 00000000477C: 685E5EC0
	s_nop 0                                                    // 000000004780: BF800000
	v_cndmask_b32_e64 v86, v11, v86, s[32:33]                  // 000000004784: D1000056 0082AD0B
	v_cmp_le_u32_e64 s[32:33], v48, v38                        // 00000000478C: D0CB0020 00024D30
	v_add_u32_e32 v48, 64, v48                                 // 000000004794: 686060C0
	s_nop 0                                                    // 000000004798: BF800000
	v_cndmask_b32_e64 v87, v11, v87, s[32:33]                  // 00000000479C: D1000057 0082AF0B
	v_cmp_le_u32_e64 s[32:33], v49, v38                        // 0000000047A4: D0CB0020 00024D31
	v_add_u32_e32 v49, 64, v49                                 // 0000000047AC: 686262C0
	s_nop 0                                                    // 0000000047B0: BF800000
	v_cndmask_b32_e64 v88, v11, v88, s[32:33]                  // 0000000047B4: D1000058 0082B10B
	v_cmp_le_u32_e64 s[32:33], v50, v38                        // 0000000047BC: D0CB0020 00024D32
	v_add_u32_e32 v50, 64, v50                                 // 0000000047C4: 686464C0
	s_nop 0                                                    // 0000000047C8: BF800000
	v_cndmask_b32_e64 v89, v11, v89, s[32:33]                  // 0000000047CC: D1000059 0082B30B

00000000000047d4 <label_0935>:
	s_add_u32 s83, s84, s83                                    // 0000000047D4: 80535354
	v_mov_b32_e32 v8, v86                                      // 0000000047D8: 7E100356
	v_max3_f32 v8, v86, v87, v8                                // 0000000047DC: D1D30008 0422AF56
	v_max3_f32 v8, v88, v89, v8                                // 0000000047E4: D1D30008 0422B358
	ds_write_b32 v5, v8 offset:21120                           // 0000000047EC: D81A5280 00000805
	v_perm_b32 v34, v204, v202, s54                            // 0000000047F4: D1ED0022 00DB95CC
	v_perm_b32 v35, v204, v202, s55                            // 0000000047FC: D1ED0023 00DF95CC
	v_perm_b32 v36, v208, v206, s54                            // 000000004804: D1ED0024 00DB9DD0
	v_perm_b32 v37, v208, v206, s55                            // 00000000480C: D1ED0025 00DF9DD0
	v_perm_b32 v218, v36, v34, s53                             // 000000004814: D1ED00DA 00D64524
	v_perm_b32 v219, v36, v34, s52                             // 00000000481C: D1ED00DB 00D24524
	v_perm_b32 v220, v37, v35, s53                             // 000000004824: D1ED00DC 00D64725
	v_perm_b32 v221, v37, v35, s52                             // 00000000482C: D1ED00DD 00D24725
	v_accvgpr_write_b32 a110, v218                             // 000000004834: D3D9406E 180001DA
	v_accvgpr_write_b32 a114, v219                             // 00000000483C: D3D94072 180001DB
	v_accvgpr_write_b32 a118, v220                             // 000000004844: D3D94076 180001DC
	v_accvgpr_write_b32 a122, v221                             // 00000000484C: D3D9407A 180001DD
	v_perm_b32 v34, v205, v203, s54                            // 000000004854: D1ED0022 00DB97CD
	v_perm_b32 v35, v205, v203, s55                            // 00000000485C: D1ED0023 00DF97CD
	v_perm_b32 v36, v209, v207, s54                            // 000000004864: D1ED0024 00DB9FD1
	v_perm_b32 v37, v209, v207, s55                            // 00000000486C: D1ED0025 00DF9FD1
	v_perm_b32 v218, v36, v34, s53                             // 000000004874: D1ED00DA 00D64524
	v_perm_b32 v219, v36, v34, s52                             // 00000000487C: D1ED00DB 00D24524
	v_perm_b32 v220, v37, v35, s53                             // 000000004884: D1ED00DC 00D64725
	v_perm_b32 v221, v37, v35, s52                             // 00000000488C: D1ED00DD 00D24725
	v_accvgpr_write_b32 a126, v218                             // 000000004894: D3D9407E 180001DA
	v_accvgpr_write_b32 a130, v219                             // 00000000489C: D3D94082 180001DB
	v_accvgpr_write_b32 a134, v220                             // 0000000048A4: D3D94086 180001DC
	v_accvgpr_write_b32 a138, v221                             // 0000000048AC: D3D9408A 180001DD
	s_waitcnt lgkmcnt(0)                                       // 0000000048B4: BF8CC07F
	s_barrier                                                  // 0000000048B8: BF8A0000
	v_perm_b32 v34, v212, v210, s54                            // 0000000048BC: D1ED0022 00DBA5D4
	v_perm_b32 v35, v212, v210, s55                            // 0000000048C4: D1ED0023 00DFA5D4
	v_perm_b32 v36, v216, v214, s54                            // 0000000048CC: D1ED0024 00DBADD8
	v_perm_b32 v37, v216, v214, s55                            // 0000000048D4: D1ED0025 00DFADD8
	v_perm_b32 v218, v36, v34, s53                             // 0000000048DC: D1ED00DA 00D64524
	v_perm_b32 v219, v36, v34, s52                             // 0000000048E4: D1ED00DB 00D24524
	v_perm_b32 v220, v37, v35, s53                             // 0000000048EC: D1ED00DC 00D64725
	v_perm_b32 v221, v37, v35, s52                             // 0000000048F4: D1ED00DD 00D24725
	v_accvgpr_write_b32 a111, v218                             // 0000000048FC: D3D9406F 180001DA
	v_accvgpr_write_b32 a115, v219                             // 000000004904: D3D94073 180001DB
	v_accvgpr_write_b32 a119, v220                             // 00000000490C: D3D94077 180001DC
	v_accvgpr_write_b32 a123, v221                             // 000000004914: D3D9407B 180001DD
	ds_read_b32 v58, v4 offset:21120                           // 00000000491C: D86C5280 3A000004
	buffer_load_dword v202, v50, s[20:23], 0 offen             // 000000004924: E0501000 8005CA32
	buffer_load_dword v203, v50, s[20:23], 0 offen offset:64   // 00000000492C: E0501040 8005CB32
	ds_read_b32 v59, v4 offset:21184                           // 000000004934: D86C52C0 3B000004
	ds_read_b32 v60, v4 offset:21248                           // 00000000493C: D86C5300 3C000004
	ds_read_b32 v61, v4 offset:21312                           // 000000004944: D86C5340 3D000004
	ds_read_b32 v62, v4 offset:21376                           // 00000000494C: D86C5380 3E000004
	ds_read_b32 v63, v4 offset:21440                           // 000000004954: D86C53C0 3F000004
	ds_read_b32 v64, v4 offset:21504                           // 00000000495C: D86C5400 40000004
	ds_read_b32 v65, v4 offset:21568                           // 000000004964: D86C5440 41000004
	ds_read_b32 v66, v4 offset:21632                           // 00000000496C: D86C5480 42000004
	buffer_load_dword v204, v51, s[20:23], 0 offen             // 000000004974: E0501000 8005CC33
	buffer_load_dword v205, v51, s[20:23], 0 offen offset:64   // 00000000497C: E0501040 8005CD33
	ds_read_b32 v67, v4 offset:21696                           // 000000004984: D86C54C0 43000004
	ds_read_b32 v68, v4 offset:21760                           // 00000000498C: D86C5500 44000004
	ds_read_b32 v69, v4 offset:21824                           // 000000004994: D86C5540 45000004
	ds_read_b32 v70, v4 offset:21888                           // 00000000499C: D86C5580 46000004
	ds_read_b32 v71, v4 offset:21952                           // 0000000049A4: D86C55C0 47000004
	ds_read_b32 v72, v4 offset:22016                           // 0000000049AC: D86C5600 48000004
	ds_read_b32 v73, v4 offset:22080                           // 0000000049B4: D86C5640 49000004
	buffer_load_dword v206, v52, s[20:23], 0 offen             // 0000000049BC: E0501000 8005CE34
	buffer_load_dword v207, v52, s[20:23], 0 offen offset:64   // 0000000049C4: E0501040 8005CF34
	v_perm_b32 v34, v213, v211, s54                            // 0000000049CC: D1ED0022 00DBA7D5
	v_perm_b32 v35, v213, v211, s55                            // 0000000049D4: D1ED0023 00DFA7D5
	v_perm_b32 v36, v217, v215, s54                            // 0000000049DC: D1ED0024 00DBAFD9
	v_perm_b32 v37, v217, v215, s55                            // 0000000049E4: D1ED0025 00DFAFD9
	v_perm_b32 v218, v36, v34, s53                             // 0000000049EC: D1ED00DA 00D64524
	v_perm_b32 v219, v36, v34, s52                             // 0000000049F4: D1ED00DB 00D24524
	v_perm_b32 v220, v37, v35, s53                             // 0000000049FC: D1ED00DC 00D64725
	v_perm_b32 v221, v37, v35, s52                             // 000000004A04: D1ED00DD 00D24725
	v_accvgpr_write_b32 a127, v218                             // 000000004A0C: D3D9407F 180001DA
	v_accvgpr_write_b32 a131, v219                             // 000000004A14: D3D94083 180001DB
	v_accvgpr_write_b32 a135, v220                             // 000000004A1C: D3D94087 180001DC
	v_accvgpr_write_b32 a139, v221                             // 000000004A24: D3D9408B 180001DD
	s_waitcnt lgkmcnt(0)                                       // 000000004A2C: BF8CC07F
	v_max3_f32 v8, v58, v59, v8                                // 000000004A30: D1D30008 0422773A
	v_max3_f32 v8, v60, v61, v8                                // 000000004A38: D1D30008 04227B3C
	v_max3_f32 v8, v62, v63, v8                                // 000000004A40: D1D30008 04227F3E
	v_max3_f32 v8, v64, v65, v8                                // 000000004A48: D1D30008 04228340
	v_max3_f32 v8, v66, v67, v8                                // 000000004A50: D1D30008 04228742
	v_max3_f32 v8, v68, v69, v8                                // 000000004A58: D1D30008 04228B44
	v_max3_f32 v8, v70, v71, v8                                // 000000004A60: D1D30008 04228F46
	v_max3_f32 v8, v72, v73, v8                                // 000000004A68: D1D30008 04229348
	buffer_load_dword v208, v53, s[20:23], 0 offen             // 000000004A70: E0501000 8005D035
	buffer_load_dword v209, v53, s[20:23], 0 offen offset:64   // 000000004A78: E0501040 8005D135
	v_cmp_eq_u32_e64 s[32:33], v11, v13                        // 000000004A80: D0CA0020 00021B0B
	v_max_f32_e32 v14, v8, v13                                 // 000000004A88: 161C1B08
	v_sub_f32_e32 v21, v13, v14                                // 000000004A8C: 042A1D0D
	v_cndmask_b32_e64 v21, v21, 0, s[32:33]                    // 000000004A90: D1000015 00810115
	v_mov_b32_e32 v13, v14                                     // 000000004A98: 7E1A030E
	v_mul_f32_e32 v9, s5, v14                                  // 000000004A9C: 0A121C05
	v_mul_f32_e32 v21, s5, v21                                 // 000000004AA0: 0A2A2A05
	v_exp_f32_e32 v21, v21                                     // 000000004AA4: 7E2A4115
	buffer_load_dword v210, v54, s[20:23], 0 offen             // 000000004AA8: E0501000 8005D236
	buffer_load_dword v211, v54, s[20:23], 0 offen offset:64   // 000000004AB0: E0501040 8005D336
	v_fma_f32 v86, v86, s5, -v9                                // 000000004AB8: D1CB0056 84240B56
	v_fma_f32 v87, v87, s5, -v9                                // 000000004AC0: D1CB0057 84240B57
	v_fma_f32 v88, v88, s5, -v9                                // 000000004AC8: D1CB0058 84240B58
	v_fma_f32 v89, v89, s5, -v9                                // 000000004AD0: D1CB0059 84240B59
	v_exp_f32_e32 v86, v86                                     // 000000004AD8: 7EAC4156
	v_exp_f32_e32 v87, v87                                     // 000000004ADC: 7EAE4157
	v_exp_f32_e32 v88, v88                                     // 000000004AE0: 7EB04158
	v_exp_f32_e32 v89, v89                                     // 000000004AE4: 7EB24159
	buffer_load_dword v212, v55, s[20:23], 0 offen             // 000000004AE8: E0501000 8005D437
	buffer_load_dword v213, v55, s[20:23], 0 offen offset:64   // 000000004AF0: E0501040 8005D537
	v_mul_f32_e32 v16, v21, v16                                // 000000004AF8: 0A202115
	v_mov_b32_e32 v17, v86                                     // 000000004AFC: 7E220356
	v_add_f32_e32 v17, v87, v17                                // 000000004B00: 02222357
	v_add_f32_e32 v17, v88, v17                                // 000000004B04: 02222358
	v_add_f32_e32 v17, v89, v17                                // 000000004B08: 02222359
	v_add_f32_e32 v16, v17, v16                                // 000000004B0C: 02202111
	buffer_load_dword v214, v56, s[20:23], 0 offen             // 000000004B10: E0501000 8005D638
	buffer_load_dword v215, v56, s[20:23], 0 offen offset:64   // 000000004B18: E0501040 8005D738
	v_cvt_pk_fp8_f32 v86, v86, v87                             // 000000004B20: D2A20056 0002AF56
	v_cvt_pk_fp8_f32 v86, v88, v89 op_sel:[0,0,1]              // 000000004B28: D2A24056 0002B358
	ds_write_b32 v7, v86                                       // 000000004B30: D81A0000 00005607
	buffer_load_dword v216, v57, s[20:23], 0 offen             // 000000004B38: E0501000 8005D839
	buffer_load_dword v217, v57, s[20:23], 0 offen offset:64   // 000000004B40: E0501040 8005D939
	v_mov_b32_e32 v34, v21                                     // 000000004B48: 7E440315
	v_mov_b32_e32 v35, v21                                     // 000000004B4C: 7E460315
	v_pk_mul_f32 v[122:123], v[34:35], v[122:123]              // 000000004B50: D3B1407A 1802F522
	v_pk_mul_f32 v[124:125], v[34:35], v[124:125]              // 000000004B58: D3B1407C 1802F922
	v_pk_mul_f32 v[126:127], v[34:35], v[126:127]              // 000000004B60: D3B1407E 1802FD22
	v_pk_mul_f32 v[128:129], v[34:35], v[128:129]              // 000000004B68: D3B14080 18030122
	v_pk_mul_f32 v[130:131], v[34:35], v[130:131]              // 000000004B70: D3B14082 18030522
	v_pk_mul_f32 v[132:133], v[34:35], v[132:133]              // 000000004B78: D3B14084 18030922
	v_pk_mul_f32 v[134:135], v[34:35], v[134:135]              // 000000004B80: D3B14086 18030D22
	v_pk_mul_f32 v[136:137], v[34:35], v[136:137]              // 000000004B88: D3B14088 18031122
	v_pk_mul_f32 v[138:139], v[34:35], v[138:139]              // 000000004B90: D3B1408A 18031522
	v_pk_mul_f32 v[140:141], v[34:35], v[140:141]              // 000000004B98: D3B1408C 18031922
	v_pk_mul_f32 v[142:143], v[34:35], v[142:143]              // 000000004BA0: D3B1408E 18031D22
	v_pk_mul_f32 v[144:145], v[34:35], v[144:145]              // 000000004BA8: D3B14090 18032122
	v_pk_mul_f32 v[146:147], v[34:35], v[146:147]              // 000000004BB0: D3B14092 18032522
	v_pk_mul_f32 v[148:149], v[34:35], v[148:149]              // 000000004BB8: D3B14094 18032922
	v_pk_mul_f32 v[150:151], v[34:35], v[150:151]              // 000000004BC0: D3B14096 18032D22
	v_pk_mul_f32 v[152:153], v[34:35], v[152:153]              // 000000004BC8: D3B14098 18033122
	s_waitcnt lgkmcnt(0)                                       // 000000004BD0: BF8CC07F
	s_barrier                                                  // 000000004BD4: BF8A0000
	ds_read_b64 v[86:87], v6                                   // 000000004BD8: D8EC0000 56000006
	ds_read_b64 v[88:89], v6 offset:32                         // 000000004BE0: D8EC0020 58000006
	v_mul_u32_u24_dpp v42, v26, v10 row_newbcast:0 row_mask:0xf bank_mask:0xf// 000000004BE8: 105414FA FF01501A
	v_mul_u32_u24_dpp v43, v26, v10 row_newbcast:1 row_mask:0xf bank_mask:0xf// 000000004BF0: 105614FA FF01511A
	v_mul_u32_u24_dpp v44, v26, v10 row_newbcast:2 row_mask:0xf bank_mask:0xf// 000000004BF8: 105814FA FF01521A
	v_mul_u32_u24_dpp v45, v26, v10 row_newbcast:3 row_mask:0xf bank_mask:0xf// 000000004C00: 105A14FA FF01531A
	v_mul_u32_u24_dpp v46, v26, v10 row_newbcast:4 row_mask:0xf bank_mask:0xf// 000000004C08: 105C14FA FF01541A
	v_mul_u32_u24_dpp v47, v26, v10 row_newbcast:5 row_mask:0xf bank_mask:0xf// 000000004C10: 105E14FA FF01551A
	v_mul_u32_u24_dpp v48, v26, v10 row_newbcast:6 row_mask:0xf bank_mask:0xf// 000000004C18: 106014FA FF01561A
	v_mul_u32_u24_dpp v49, v26, v10 row_newbcast:7 row_mask:0xf bank_mask:0xf// 000000004C20: 106214FA FF01571A
	v_mul_u32_u24_dpp v50, v26, v10 row_newbcast:8 row_mask:0xf bank_mask:0xf// 000000004C28: 106414FA FF01581A
	v_mul_u32_u24_dpp v51, v26, v10 row_newbcast:9 row_mask:0xf bank_mask:0xf// 000000004C30: 106614FA FF01591A
	v_mul_u32_u24_dpp v52, v26, v10 row_newbcast:10 row_mask:0xf bank_mask:0xf// 000000004C38: 106814FA FF015A1A
	v_mul_u32_u24_dpp v53, v26, v10 row_newbcast:11 row_mask:0xf bank_mask:0xf// 000000004C40: 106A14FA FF015B1A
	v_mul_u32_u24_dpp v54, v26, v10 row_newbcast:12 row_mask:0xf bank_mask:0xf// 000000004C48: 106C14FA FF015C1A
	v_mul_u32_u24_dpp v55, v26, v10 row_newbcast:13 row_mask:0xf bank_mask:0xf// 000000004C50: 106E14FA FF015D1A
	v_mul_u32_u24_dpp v56, v26, v10 row_newbcast:14 row_mask:0xf bank_mask:0xf// 000000004C58: 107014FA FF015E1A
	v_mul_u32_u24_dpp v57, v26, v10 row_newbcast:15 row_mask:0xf bank_mask:0xf// 000000004C60: 107214FA FF015F1A
	s_mov_b32 s56, m0                                          // 000000004C68: BEB8007C
	s_set_gpr_idx_on s51, gpr_idx(SRC0)                        // 000000004C6C: BF110133
	v_add_u32_e32 v38, v42, v3                                 // 000000004C70: 684C072A
	v_add_u32_e32 v39, v43, v3                                 // 000000004C74: 684E072B
	v_add_u32_e32 v40, v44, v3                                 // 000000004C78: 6850072C
	v_add_u32_e32 v41, v45, v3                                 // 000000004C7C: 6852072D
	s_set_gpr_idx_off                                          // 000000004C80: BF9C0000
	s_mov_b32 m0, s56                                          // 000000004C84: BEFC0038
	v_add_u32_e32 v42, v42, v2                                 // 000000004C88: 6854052A
	v_add_u32_e32 v43, v43, v2                                 // 000000004C8C: 6856052B
	v_add_u32_e32 v44, v44, v2                                 // 000000004C90: 6858052C
	v_add_u32_e32 v45, v45, v2                                 // 000000004C94: 685A052D
	v_add_u32_e32 v46, v46, v2                                 // 000000004C98: 685C052E
	v_add_u32_e32 v47, v47, v2                                 // 000000004C9C: 685E052F
	v_add_u32_e32 v48, v48, v2                                 // 000000004CA0: 68600530
	v_add_u32_e32 v49, v49, v2                                 // 000000004CA4: 68620531
	v_add_u32_e32 v50, v50, v2                                 // 000000004CA8: 68640532
	v_add_u32_e32 v51, v51, v2                                 // 000000004CAC: 68660533
	v_add_u32_e32 v52, v52, v2                                 // 000000004CB0: 68680534
	v_add_u32_e32 v53, v53, v2                                 // 000000004CB4: 686A0535
	v_add_u32_e32 v54, v54, v2                                 // 000000004CB8: 686C0536
	v_add_u32_e32 v55, v55, v2                                 // 000000004CBC: 686E0537
	v_add_u32_e32 v56, v56, v2                                 // 000000004CC0: 68700538
	v_add_u32_e32 v57, v57, v2                                 // 000000004CC4: 68720539
	s_waitcnt lgkmcnt(0)                                       // 000000004CC8: BF8CC07F
	s_waitcnt vmcnt(37)                                        // 000000004CCC: BF8C8F75
	v_mfma_f32_16x16x32_fp8_fp8 v[90:93], a[108:109], v[82:83], v[90:93]// 000000004CD0: D3F3005A 0D6AA56C
	v_mfma_f32_16x16x32_fp8_fp8 v[90:93], a[110:111], v[84:85], v[90:93]// 000000004CD8: D3F3005A 0D6AA96E
	ds_write_b32 v22, v170                                     // 000000004CE0: D81A0000 0000AA16
	ds_write_b32 v22, v171 offset:64                           // 000000004CE8: D81A0040 0000AB16
	v_mfma_f32_16x16x32_fp8_fp8 v[94:97], a[112:113], v[82:83], v[94:97]// 000000004CF0: D3F3005E 0D7AA570
	v_mfma_f32_16x16x32_fp8_fp8 v[94:97], a[114:115], v[84:85], v[94:97]// 000000004CF8: D3F3005E 0D7AA972
	ds_write_b32 v22, v172 offset:4128                         // 000000004D00: D81A1020 0000AC16
	ds_write_b32 v22, v173 offset:4192                         // 000000004D08: D81A1060 0000AD16
	v_mfma_f32_16x16x32_fp8_fp8 v[98:101], a[116:117], v[82:83], v[98:101]// 000000004D10: D3F30062 0D8AA574
	v_mfma_f32_16x16x32_fp8_fp8 v[98:101], a[118:119], v[84:85], v[98:101]// 000000004D18: D3F30062 0D8AA976
	ds_write_b32 v22, v174 offset:8256                         // 000000004D20: D81A2040 0000AE16
	ds_write_b32 v22, v175 offset:8320                         // 000000004D28: D81A2080 0000AF16
	v_mfma_f32_16x16x32_fp8_fp8 v[102:105], a[120:121], v[82:83], v[102:105]// 000000004D30: D3F30066 0D9AA578
	v_mfma_f32_16x16x32_fp8_fp8 v[102:105], a[122:123], v[84:85], v[102:105]// 000000004D38: D3F30066 0D9AA97A
	ds_write_b32 v22, v176 offset:12384                        // 000000004D40: D81A3060 0000B016
	ds_write_b32 v22, v177 offset:12448                        // 000000004D48: D81A30A0 0000B116
	v_mfma_f32_16x16x32_fp8_fp8 v[106:109], a[124:125], v[82:83], v[106:109]// 000000004D50: D3F3006A 0DAAA57C
	v_mfma_f32_16x16x32_fp8_fp8 v[106:109], a[126:127], v[84:85], v[106:109]// 000000004D58: D3F3006A 0DAAA97E
	ds_write_b32 v22, v178 offset:512                          // 000000004D60: D81A0200 0000B216
	ds_write_b32 v22, v179 offset:576                          // 000000004D68: D81A0240 0000B316
	v_mfma_f32_16x16x32_fp8_fp8 v[110:113], a[128:129], v[82:83], v[110:113]// 000000004D70: D3F3006E 0DBAA580
	v_mfma_f32_16x16x32_fp8_fp8 v[110:113], a[130:131], v[84:85], v[110:113]// 000000004D78: D3F3006E 0DBAA982
	ds_write_b32 v22, v180 offset:4640                         // 000000004D80: D81A1220 0000B416
	ds_write_b32 v22, v181 offset:4704                         // 000000004D88: D81A1260 0000B516
	v_mfma_f32_16x16x32_fp8_fp8 v[114:117], a[132:133], v[82:83], v[114:117]// 000000004D90: D3F30072 0DCAA584
	v_mfma_f32_16x16x32_fp8_fp8 v[114:117], a[134:135], v[84:85], v[114:117]// 000000004D98: D3F30072 0DCAA986
	ds_write_b32 v22, v182 offset:8768                         // 000000004DA0: D81A2240 0000B616
	ds_write_b32 v22, v183 offset:8832                         // 000000004DA8: D81A2280 0000B716
	v_mfma_f32_16x16x32_fp8_fp8 v[118:121], a[136:137], v[82:83], v[118:121]// 000000004DB0: D3F30076 0DDAA588
	v_mfma_f32_16x16x32_fp8_fp8 v[118:121], a[138:139], v[84:85], v[118:121]// 000000004DB8: D3F30076 0DDAA98A
	ds_write_b32 v22, v184 offset:12896                        // 000000004DC0: D81A3260 0000B816
	ds_write_b32 v22, v185 offset:12960                        // 000000004DC8: D81A32A0 0000B916
	ds_read_b64 a[104:105], v25 offset:16512                   // 000000004DD0: DAEC4080 68000019
	ds_read_b64 a[106:107], v25 offset:16520                   // 000000004DD8: DAEC4088 6A000019
	v_mfma_f32_16x16x32_fp8_fp8 v[122:125], a[108:109], v[86:87], v[122:125]// 000000004DE0: D3F3007A 0DEAAD6C
	v_mfma_f32_16x16x32_fp8_fp8 v[122:125], a[110:111], v[88:89], v[122:125]// 000000004DE8: D3F3007A 0DEAB16E
	s_waitcnt lgkmcnt(4)                                       // 000000004DF0: BF8CC47F
	s_barrier                                                  // 000000004DF4: BF8A0000
	v_mfma_f32_16x16x32_fp8_fp8 v[126:129], a[112:113], v[86:87], v[126:129]// 000000004DF8: D3F3007E 0DFAAD70
	v_mfma_f32_16x16x32_fp8_fp8 v[126:129], a[114:115], v[88:89], v[126:129]// 000000004E00: D3F3007E 0DFAB172
	v_mfma_f32_16x16x32_fp8_fp8 v[130:133], a[116:117], v[86:87], v[130:133]// 000000004E08: D3F30082 0E0AAD74
	v_mfma_f32_16x16x32_fp8_fp8 v[130:133], a[118:119], v[88:89], v[130:133]// 000000004E10: D3F30082 0E0AB176
	v_mfma_f32_16x16x32_fp8_fp8 v[134:137], a[120:121], v[86:87], v[134:137]// 000000004E18: D3F30086 0E1AAD78
	v_mfma_f32_16x16x32_fp8_fp8 v[134:137], a[122:123], v[88:89], v[134:137]// 000000004E20: D3F30086 0E1AB17A
	v_mfma_f32_16x16x32_fp8_fp8 v[138:141], a[124:125], v[86:87], v[138:141]// 000000004E28: D3F3008A 0E2AAD7C
	v_mfma_f32_16x16x32_fp8_fp8 v[138:141], a[126:127], v[88:89], v[138:141]// 000000004E30: D3F3008A 0E2AB17E
	v_mfma_f32_16x16x32_fp8_fp8 v[142:145], a[128:129], v[86:87], v[142:145]// 000000004E38: D3F3008E 0E3AAD80
	v_mfma_f32_16x16x32_fp8_fp8 v[142:145], a[130:131], v[88:89], v[142:145]// 000000004E40: D3F3008E 0E3AB182
	v_mfma_f32_16x16x32_fp8_fp8 v[146:149], a[132:133], v[86:87], v[146:149]// 000000004E48: D3F30092 0E4AAD84
	v_mfma_f32_16x16x32_fp8_fp8 v[146:149], a[134:135], v[88:89], v[146:149]// 000000004E50: D3F30092 0E4AB186
	v_mfma_f32_16x16x32_fp8_fp8 v[150:153], a[136:137], v[86:87], v[150:153]// 000000004E58: D3F30096 0E5AAD88
	v_mfma_f32_16x16x32_fp8_fp8 v[150:153], a[138:139], v[88:89], v[150:153]// 000000004E60: D3F30096 0E5AB18A
	s_addk_i32 s70, 0x1                                        // 000000004E68: B7460001
	s_cmp_lt_i32 s70, s71                                      // 000000004E6C: BF044746
	s_cbranch_scc0 label_0ADE                                  // 000000004E70: BF840001
	s_branch label_03D1                                        // 000000004E74: BF82F8F3

0000000000004e78 <label_0ADE>:
	s_nop 0                                                    // 000000004E78: BF800000
	s_nop 0                                                    // 000000004E7C: BF800000
	s_branch label_11EE                                        // 000000004E80: BF82070D

0000000000004e84 <label_0AE1>:
	s_waitcnt vmcnt(16) lgkmcnt(0)                             // 000000004E84: BF8C4070
	s_barrier                                                  // 000000004E88: BF8A0000
	v_mfma_f32_16x16x32_fp8_fp8 v[82:85], a[72:73], a[0:1], 0  // 000000004E8C: D3F30052 1A020148
	buffer_load_dword v26, v28, s[24:27], 0 offen              // 000000004E94: E0501000 80061A1C
	v_mfma_f32_16x16x32_fp8_fp8 v[82:85], a[74:75], a[2:3], v[82:85]// 000000004E9C: D3F30052 1D4A054A
	ds_write_b32 v22, v186                                     // 000000004EA4: D81A0000 0000BA16
	ds_write_b32 v22, v187 offset:64                           // 000000004EAC: D81A0040 0000BB16
	v_mfma_f32_16x16x32_fp8_fp8 v[82:85], a[76:77], a[4:5], v[82:85]// 000000004EB4: D3F30052 1D4A094C
	v_mfma_f32_16x16x32_fp8_fp8 v[82:85], a[78:79], a[6:7], v[82:85]// 000000004EBC: D3F30052 1D4A0D4E
	ds_write_b32 v22, v188 offset:4128                         // 000000004EC4: D81A1020 0000BC16
	ds_write_b32 v22, v189 offset:4192                         // 000000004ECC: D81A1060 0000BD16
	v_mfma_f32_16x16x32_fp8_fp8 v[82:85], a[80:81], a[8:9], v[82:85]// 000000004ED4: D3F30052 1D4A1150
	v_mfma_f32_16x16x32_fp8_fp8 v[82:85], a[82:83], a[10:11], v[82:85]// 000000004EDC: D3F30052 1D4A1552
	ds_write_b32 v22, v190 offset:8256                         // 000000004EE4: D81A2040 0000BE16
	ds_write_b32 v22, v191 offset:8320                         // 000000004EEC: D81A2080 0000BF16
	v_mfma_f32_16x16x32_fp8_fp8 v[82:85], a[84:85], a[12:13], v[82:85]// 000000004EF4: D3F30052 1D4A1954
	v_mfma_f32_16x16x32_fp8_fp8 v[82:85], a[86:87], a[14:15], v[82:85]// 000000004EFC: D3F30052 1D4A1D56
	ds_write_b32 v22, v192 offset:12384                        // 000000004F04: D81A3060 0000C016
	ds_write_b32 v22, v193 offset:12448                        // 000000004F0C: D81A30A0 0000C116
	v_mfma_f32_16x16x32_fp8_fp8 v[82:85], a[88:89], a[16:17], v[82:85]// 000000004F14: D3F30052 1D4A2158
	v_mfma_f32_16x16x32_fp8_fp8 v[82:85], a[90:91], a[18:19], v[82:85]// 000000004F1C: D3F30052 1D4A255A
	ds_write_b32 v22, v194 offset:512                          // 000000004F24: D81A0200 0000C216
	ds_write_b32 v22, v195 offset:576                          // 000000004F2C: D81A0240 0000C316
	v_mfma_f32_16x16x32_fp8_fp8 v[82:85], a[92:93], a[20:21], v[82:85]// 000000004F34: D3F30052 1D4A295C
	v_mfma_f32_16x16x32_fp8_fp8 v[82:85], a[94:95], a[22:23], v[82:85]// 000000004F3C: D3F30052 1D4A2D5E
	ds_write_b32 v22, v196 offset:4640                         // 000000004F44: D81A1220 0000C416
	ds_write_b32 v22, v197 offset:4704                         // 000000004F4C: D81A1260 0000C516
	v_mfma_f32_16x16x32_fp8_fp8 v[82:85], a[96:97], a[24:25], v[82:85]// 000000004F54: D3F30052 1D4A3160
	v_mfma_f32_16x16x32_fp8_fp8 v[82:85], a[98:99], a[26:27], v[82:85]// 000000004F5C: D3F30052 1D4A3562
	ds_write_b32 v22, v198 offset:8768                         // 000000004F64: D81A2240 0000C616
	ds_write_b32 v22, v199 offset:8832                         // 000000004F6C: D81A2280 0000C716
	v_mfma_f32_16x16x32_fp8_fp8 v[82:85], a[100:101], a[28:29], v[82:85]// 000000004F74: D3F30052 1D4A3964
	v_mfma_f32_16x16x32_fp8_fp8 v[82:85], a[102:103], a[30:31], v[82:85]// 000000004F7C: D3F30052 1D4A3D66
	ds_write_b32 v22, v200 offset:12896                        // 000000004F84: D81A3260 0000C816
	ds_write_b32 v22, v201 offset:12960                        // 000000004F8C: D81A32A0 0000C916
	v_mfma_f32_16x16x32_fp8_fp8 v[82:85], a[104:105], a[32:33], v[82:85]// 000000004F94: D3F30052 1D4A4168
	buffer_load_dword v74, v38, s[20:23], 0 offen              // 000000004F9C: E0501000 80054A26
	buffer_load_dword v75, v39, s[20:23], 0 offen              // 000000004FA4: E0501000 80054B27
	v_mfma_f32_16x16x32_fp8_fp8 v[82:85], a[106:107], a[34:35], v[82:85]// 000000004FAC: D3F30052 1D4A456A
	ds_write_b32 v23, v78 offset:16512                         // 000000004FB4: D81A4080 00004E17
	ds_write_b32 v23, v79 offset:16584                         // 000000004FBC: D81A40C8 00004F17
	v_add_u32_e32 v28, s73, v28                                // 000000004FC4: 68383849
	v_mfma_f32_16x16x32_fp8_fp8 v[86:89], a[72:73], a[36:37], 0// 000000004FC8: D3F30056 1A024948
	v_mfma_f32_16x16x32_fp8_fp8 v[86:89], a[74:75], a[38:39], v[86:89]// 000000004FD0: D3F30056 1D5A4D4A
	v_mfma_f32_16x16x32_fp8_fp8 v[86:89], a[76:77], a[40:41], v[86:89]// 000000004FD8: D3F30056 1D5A514C
	v_mfma_f32_16x16x32_fp8_fp8 v[86:89], a[78:79], a[42:43], v[86:89]// 000000004FE0: D3F30056 1D5A554E
	v_mfma_f32_16x16x32_fp8_fp8 v[86:89], a[80:81], a[44:45], v[86:89]// 000000004FE8: D3F30056 1D5A5950
	v_mfma_f32_16x16x32_fp8_fp8 v[86:89], a[82:83], a[46:47], v[86:89]// 000000004FF0: D3F30056 1D5A5D52
	v_mfma_f32_16x16x32_fp8_fp8 v[86:89], a[84:85], a[48:49], v[86:89]// 000000004FF8: D3F30056 1D5A6154
	ds_write_b32 v23, v80 offset:16656                         // 000000005000: D81A4110 00005017
	ds_write_b32 v23, v81 offset:16728                         // 000000005008: D81A4158 00005117
	v_mfma_f32_16x16x32_fp8_fp8 v[86:89], a[86:87], a[50:51], v[86:89]// 000000005010: D3F30056 1D5A6556
	buffer_load_dword v76, v40, s[20:23], 0 offen              // 000000005018: E0501000 80054C28
	buffer_load_dword v77, v41, s[20:23], 0 offen              // 000000005020: E0501000 80054D29
	v_mfma_f32_16x16x32_fp8_fp8 v[86:89], a[88:89], a[52:53], v[86:89]// 000000005028: D3F30056 1D5A6958
	s_waitcnt lgkmcnt(4)                                       // 000000005030: BF8CC47F
	s_barrier                                                  // 000000005034: BF8A0000
	v_mfma_f32_16x16x32_fp8_fp8 v[86:89], a[90:91], a[54:55], v[86:89]// 000000005038: D3F30056 1D5A6D5A
	v_mfma_f32_16x16x32_fp8_fp8 v[86:89], a[92:93], a[56:57], v[86:89]// 000000005040: D3F30056 1D5A715C
	v_mfma_f32_16x16x32_fp8_fp8 v[86:89], a[94:95], a[58:59], v[86:89]// 000000005048: D3F30056 1D5A755E
	v_mfma_f32_16x16x32_fp8_fp8 v[86:89], a[96:97], a[60:61], v[86:89]// 000000005050: D3F30056 1D5A7960
	v_mfma_f32_16x16x32_fp8_fp8 v[86:89], a[98:99], a[62:63], v[86:89]// 000000005058: D3F30056 1D5A7D62
	v_mfma_f32_16x16x32_fp8_fp8 v[86:89], a[100:101], a[64:65], v[86:89]// 000000005060: D3F30056 1D5A8164
	v_mfma_f32_16x16x32_fp8_fp8 v[86:89], a[102:103], a[66:67], v[86:89]// 000000005068: D3F30056 1D5A8566
	v_mfma_f32_16x16x32_fp8_fp8 v[86:89], a[104:105], a[68:69], v[86:89]// 000000005070: D3F30056 1D5A8968
	v_mfma_f32_16x16x32_fp8_fp8 v[86:89], a[106:107], a[70:71], v[86:89]// 000000005078: D3F30056 1D5A8D6A
	s_cmp_le_i32 s83, s82                                      // 000000005080: BF055253
	s_cbranch_scc1 label_0B85                                  // 000000005084: BF850023
	s_add_u32 s57, s82, 0                                      // 000000005088: 80398052
	v_mov_b32_e32 v38, s57                                     // 00000000508C: 7E4C0239
	s_sub_u32 s56, s83, 63                                     // 000000005090: 80B8BF53
	s_mul_i32 s57, s7, 16                                      // 000000005094: 92399007
	v_lshrrev_b32_e32 v47, 4, v0                               // 000000005098: 205E0084
	v_mul_i32_i24_e32 v47, 4, v47                              // 00000000509C: 0C5E5E84
	v_add_u32_e32 v47, s56, v47                                // 0000000050A0: 685E5E38
	v_add_u32_e32 v47, s57, v47                                // 0000000050A4: 685E5E39
	v_add_u32_e32 v48, 1, v47                                  // 0000000050A8: 68605E81
	v_add_u32_e32 v49, 2, v47                                  // 0000000050AC: 68625E82
	v_add_u32_e32 v50, 3, v47                                  // 0000000050B0: 68645E83
	v_cmp_le_u32_e64 s[32:33], v47, v38                        // 0000000050B4: D0CB0020 00024D2F
	v_add_u32_e32 v47, 64, v47                                 // 0000000050BC: 685E5EC0
	s_nop 0                                                    // 0000000050C0: BF800000
	v_cndmask_b32_e64 v82, v11, v82, s[32:33]                  // 0000000050C4: D1000052 0082A50B
	v_cmp_le_u32_e64 s[32:33], v48, v38                        // 0000000050CC: D0CB0020 00024D30
	v_add_u32_e32 v48, 64, v48                                 // 0000000050D4: 686060C0
	s_nop 0                                                    // 0000000050D8: BF800000
	v_cndmask_b32_e64 v83, v11, v83, s[32:33]                  // 0000000050DC: D1000053 0082A70B
	v_cmp_le_u32_e64 s[32:33], v49, v38                        // 0000000050E4: D0CB0020 00024D31
	v_add_u32_e32 v49, 64, v49                                 // 0000000050EC: 686262C0
	s_nop 0                                                    // 0000000050F0: BF800000
	v_cndmask_b32_e64 v84, v11, v84, s[32:33]                  // 0000000050F4: D1000054 0082A90B
	v_cmp_le_u32_e64 s[32:33], v50, v38                        // 0000000050FC: D0CB0020 00024D32
	v_add_u32_e32 v50, 64, v50                                 // 000000005104: 686464C0
	s_nop 0                                                    // 000000005108: BF800000
	v_cndmask_b32_e64 v85, v11, v85, s[32:33]                  // 00000000510C: D1000055 0082AB0B

0000000000005114 <label_0B85>:
	v_mov_b32_e32 v8, v82                                      // 000000005114: 7E100352
	v_max3_f32 v8, v82, v83, v8                                // 000000005118: D1D30008 0422A752
	v_max3_f32 v8, v84, v85, v8                                // 000000005120: D1D30008 0422AB54
	ds_write_b32 v5, v8 offset:21120                           // 000000005128: D81A5280 00000805
	v_perm_b32 v34, v156, v154, s54                            // 000000005130: D1ED0022 00DB359C
	v_perm_b32 v35, v156, v154, s55                            // 000000005138: D1ED0023 00DF359C
	v_perm_b32 v36, v160, v158, s54                            // 000000005140: D1ED0024 00DB3DA0
	v_perm_b32 v37, v160, v158, s55                            // 000000005148: D1ED0025 00DF3DA0
	v_perm_b32 v218, v36, v34, s53                             // 000000005150: D1ED00DA 00D64524
	v_perm_b32 v219, v36, v34, s52                             // 000000005158: D1ED00DB 00D24524
	v_perm_b32 v220, v37, v35, s53                             // 000000005160: D1ED00DC 00D64725
	v_perm_b32 v221, v37, v35, s52                             // 000000005168: D1ED00DD 00D24725
	v_accvgpr_write_b32 a108, v218                             // 000000005170: D3D9406C 180001DA
	v_accvgpr_write_b32 a112, v219                             // 000000005178: D3D94070 180001DB
	v_accvgpr_write_b32 a116, v220                             // 000000005180: D3D94074 180001DC
	v_accvgpr_write_b32 a120, v221                             // 000000005188: D3D94078 180001DD
	v_perm_b32 v34, v157, v155, s54                            // 000000005190: D1ED0022 00DB379D
	v_perm_b32 v35, v157, v155, s55                            // 000000005198: D1ED0023 00DF379D
	v_perm_b32 v36, v161, v159, s54                            // 0000000051A0: D1ED0024 00DB3FA1
	v_perm_b32 v37, v161, v159, s55                            // 0000000051A8: D1ED0025 00DF3FA1
	v_perm_b32 v218, v36, v34, s53                             // 0000000051B0: D1ED00DA 00D64524
	v_perm_b32 v219, v36, v34, s52                             // 0000000051B8: D1ED00DB 00D24524
	v_perm_b32 v220, v37, v35, s53                             // 0000000051C0: D1ED00DC 00D64725
	v_perm_b32 v221, v37, v35, s52                             // 0000000051C8: D1ED00DD 00D24725
	v_accvgpr_write_b32 a124, v218                             // 0000000051D0: D3D9407C 180001DA
	v_accvgpr_write_b32 a128, v219                             // 0000000051D8: D3D94080 180001DB
	v_accvgpr_write_b32 a132, v220                             // 0000000051E0: D3D94084 180001DC
	v_accvgpr_write_b32 a136, v221                             // 0000000051E8: D3D94088 180001DD
	s_waitcnt lgkmcnt(0)                                       // 0000000051F0: BF8CC07F
	s_barrier                                                  // 0000000051F4: BF8A0000
	ds_read_b32 v58, v4 offset:21120                           // 0000000051F8: D86C5280 3A000004
	buffer_load_dword v154, v42, s[20:23], 0 offen             // 000000005200: E0501000 80059A2A
	buffer_load_dword v155, v42, s[20:23], 0 offen offset:64   // 000000005208: E0501040 80059B2A
	ds_read_b32 v59, v4 offset:21184                           // 000000005210: D86C52C0 3B000004
	ds_read_b32 v60, v4 offset:21248                           // 000000005218: D86C5300 3C000004
	ds_read_b32 v61, v4 offset:21312                           // 000000005220: D86C5340 3D000004
	ds_read_b32 v62, v4 offset:21376                           // 000000005228: D86C5380 3E000004
	ds_read_b32 v63, v4 offset:21440                           // 000000005230: D86C53C0 3F000004
	ds_read_b32 v64, v4 offset:21504                           // 000000005238: D86C5400 40000004
	ds_read_b32 v65, v4 offset:21568                           // 000000005240: D86C5440 41000004
	ds_read_b32 v66, v4 offset:21632                           // 000000005248: D86C5480 42000004
	buffer_load_dword v156, v43, s[20:23], 0 offen             // 000000005250: E0501000 80059C2B
	buffer_load_dword v157, v43, s[20:23], 0 offen offset:64   // 000000005258: E0501040 80059D2B
	ds_read_b32 v67, v4 offset:21696                           // 000000005260: D86C54C0 43000004
	ds_read_b32 v68, v4 offset:21760                           // 000000005268: D86C5500 44000004
	ds_read_b32 v69, v4 offset:21824                           // 000000005270: D86C5540 45000004
	ds_read_b32 v70, v4 offset:21888                           // 000000005278: D86C5580 46000004
	ds_read_b32 v71, v4 offset:21952                           // 000000005280: D86C55C0 47000004
	ds_read_b32 v72, v4 offset:22016                           // 000000005288: D86C5600 48000004
	ds_read_b32 v73, v4 offset:22080                           // 000000005290: D86C5640 49000004
	v_perm_b32 v34, v164, v162, s54                            // 000000005298: D1ED0022 00DB45A4
	v_perm_b32 v35, v164, v162, s55                            // 0000000052A0: D1ED0023 00DF45A4
	v_perm_b32 v36, v168, v166, s54                            // 0000000052A8: D1ED0024 00DB4DA8
	v_perm_b32 v37, v168, v166, s55                            // 0000000052B0: D1ED0025 00DF4DA8
	v_perm_b32 v218, v36, v34, s53                             // 0000000052B8: D1ED00DA 00D64524
	v_perm_b32 v219, v36, v34, s52                             // 0000000052C0: D1ED00DB 00D24524
	v_perm_b32 v220, v37, v35, s53                             // 0000000052C8: D1ED00DC 00D64725
	v_perm_b32 v221, v37, v35, s52                             // 0000000052D0: D1ED00DD 00D24725
	v_accvgpr_write_b32 a109, v218                             // 0000000052D8: D3D9406D 180001DA
	v_accvgpr_write_b32 a113, v219                             // 0000000052E0: D3D94071 180001DB
	v_accvgpr_write_b32 a117, v220                             // 0000000052E8: D3D94075 180001DC
	v_accvgpr_write_b32 a121, v221                             // 0000000052F0: D3D94079 180001DD
	buffer_load_dword v158, v44, s[20:23], 0 offen             // 0000000052F8: E0501000 80059E2C
	buffer_load_dword v159, v44, s[20:23], 0 offen offset:64   // 000000005300: E0501040 80059F2C
	v_perm_b32 v34, v165, v163, s54                            // 000000005308: D1ED0022 00DB47A5
	v_perm_b32 v35, v165, v163, s55                            // 000000005310: D1ED0023 00DF47A5
	v_perm_b32 v36, v169, v167, s54                            // 000000005318: D1ED0024 00DB4FA9
	v_perm_b32 v37, v169, v167, s55                            // 000000005320: D1ED0025 00DF4FA9
	v_perm_b32 v218, v36, v34, s53                             // 000000005328: D1ED00DA 00D64524
	v_perm_b32 v219, v36, v34, s52                             // 000000005330: D1ED00DB 00D24524
	v_perm_b32 v220, v37, v35, s53                             // 000000005338: D1ED00DC 00D64725
	v_perm_b32 v221, v37, v35, s52                             // 000000005340: D1ED00DD 00D24725
	v_accvgpr_write_b32 a125, v218                             // 000000005348: D3D9407D 180001DA
	v_accvgpr_write_b32 a129, v219                             // 000000005350: D3D94081 180001DB
	v_accvgpr_write_b32 a133, v220                             // 000000005358: D3D94085 180001DC
	v_accvgpr_write_b32 a137, v221                             // 000000005360: D3D94089 180001DD
	s_waitcnt lgkmcnt(0)                                       // 000000005368: BF8CC07F
	v_max3_f32 v8, v58, v59, v8                                // 00000000536C: D1D30008 0422773A
	v_max3_f32 v8, v60, v61, v8                                // 000000005374: D1D30008 04227B3C
	v_max3_f32 v8, v62, v63, v8                                // 00000000537C: D1D30008 04227F3E
	v_max3_f32 v8, v64, v65, v8                                // 000000005384: D1D30008 04228340
	v_max3_f32 v8, v66, v67, v8                                // 00000000538C: D1D30008 04228742
	v_max3_f32 v8, v68, v69, v8                                // 000000005394: D1D30008 04228B44
	v_max3_f32 v8, v70, v71, v8                                // 00000000539C: D1D30008 04228F46
	v_max3_f32 v8, v72, v73, v8                                // 0000000053A4: D1D30008 04229348
	buffer_load_dword v160, v45, s[20:23], 0 offen             // 0000000053AC: E0501000 8005A02D
	buffer_load_dword v161, v45, s[20:23], 0 offen offset:64   // 0000000053B4: E0501040 8005A12D
	v_cmp_eq_u32_e64 s[32:33], v11, v12                        // 0000000053BC: D0CA0020 0002190B
	v_max_f32_e32 v14, v8, v12                                 // 0000000053C4: 161C1908
	v_sub_f32_e32 v20, v12, v14                                // 0000000053C8: 04281D0C
	v_cndmask_b32_e64 v20, v20, 0, s[32:33]                    // 0000000053CC: D1000014 00810114
	v_mov_b32_e32 v12, v14                                     // 0000000053D4: 7E18030E
	v_mul_f32_e32 v9, s5, v14                                  // 0000000053D8: 0A121C05
	v_mul_f32_e32 v20, s5, v20                                 // 0000000053DC: 0A282805
	v_exp_f32_e32 v20, v20                                     // 0000000053E0: 7E284114
	buffer_load_dword v162, v46, s[20:23], 0 offen             // 0000000053E4: E0501000 8005A22E
	buffer_load_dword v163, v46, s[20:23], 0 offen offset:64   // 0000000053EC: E0501040 8005A32E
	v_fma_f32 v82, v82, s5, -v9                                // 0000000053F4: D1CB0052 84240B52
	v_fma_f32 v83, v83, s5, -v9                                // 0000000053FC: D1CB0053 84240B53
	v_fma_f32 v84, v84, s5, -v9                                // 000000005404: D1CB0054 84240B54
	v_fma_f32 v85, v85, s5, -v9                                // 00000000540C: D1CB0055 84240B55
	v_exp_f32_e32 v82, v82                                     // 000000005414: 7EA44152
	v_exp_f32_e32 v83, v83                                     // 000000005418: 7EA64153
	v_exp_f32_e32 v84, v84                                     // 00000000541C: 7EA84154
	v_exp_f32_e32 v85, v85                                     // 000000005420: 7EAA4155
	buffer_load_dword v164, v47, s[20:23], 0 offen             // 000000005424: E0501000 8005A42F
	buffer_load_dword v165, v47, s[20:23], 0 offen offset:64   // 00000000542C: E0501040 8005A52F
	v_mul_f32_e32 v15, v20, v15                                // 000000005434: 0A1E1F14
	v_mov_b32_e32 v17, v82                                     // 000000005438: 7E220352
	v_add_f32_e32 v17, v83, v17                                // 00000000543C: 02222353
	v_add_f32_e32 v17, v84, v17                                // 000000005440: 02222354
	v_add_f32_e32 v17, v85, v17                                // 000000005444: 02222355
	v_add_f32_e32 v15, v17, v15                                // 000000005448: 021E1F11
	buffer_load_dword v166, v48, s[20:23], 0 offen             // 00000000544C: E0501000 8005A630
	buffer_load_dword v167, v48, s[20:23], 0 offen offset:64   // 000000005454: E0501040 8005A730
	v_cvt_pk_fp8_f32 v82, v82, v83                             // 00000000545C: D2A20052 0002A752
	v_cvt_pk_fp8_f32 v82, v84, v85 op_sel:[0,0,1]              // 000000005464: D2A24052 0002AB54
	ds_write_b32 v7, v82                                       // 00000000546C: D81A0000 00005207
	buffer_load_dword v168, v49, s[20:23], 0 offen             // 000000005474: E0501000 8005A831
	buffer_load_dword v169, v49, s[20:23], 0 offen offset:64   // 00000000547C: E0501040 8005A931
	s_waitcnt lgkmcnt(0)                                       // 000000005484: BF8CC07F
	s_barrier                                                  // 000000005488: BF8A0000
	ds_read_b64 v[82:83], v6                                   // 00000000548C: D8EC0000 52000006
	ds_read_b64 v[84:85], v6 offset:32                         // 000000005494: D8EC0020 54000006
	v_mov_b32_e32 v34, v20                                     // 00000000549C: 7E440314
	v_mov_b32_e32 v35, v20                                     // 0000000054A0: 7E460314
	v_pk_mul_f32 v[90:91], v[34:35], v[90:91]                  // 0000000054A4: D3B1405A 1802B522
	v_pk_mul_f32 v[92:93], v[34:35], v[92:93]                  // 0000000054AC: D3B1405C 1802B922
	v_pk_mul_f32 v[94:95], v[34:35], v[94:95]                  // 0000000054B4: D3B1405E 1802BD22
	v_pk_mul_f32 v[96:97], v[34:35], v[96:97]                  // 0000000054BC: D3B14060 1802C122
	v_pk_mul_f32 v[98:99], v[34:35], v[98:99]                  // 0000000054C4: D3B14062 1802C522
	v_pk_mul_f32 v[100:101], v[34:35], v[100:101]              // 0000000054CC: D3B14064 1802C922
	v_pk_mul_f32 v[102:103], v[34:35], v[102:103]              // 0000000054D4: D3B14066 1802CD22
	v_pk_mul_f32 v[104:105], v[34:35], v[104:105]              // 0000000054DC: D3B14068 1802D122
	v_pk_mul_f32 v[106:107], v[34:35], v[106:107]              // 0000000054E4: D3B1406A 1802D522
	v_pk_mul_f32 v[108:109], v[34:35], v[108:109]              // 0000000054EC: D3B1406C 1802D922
	v_pk_mul_f32 v[110:111], v[34:35], v[110:111]              // 0000000054F4: D3B1406E 1802DD22
	v_pk_mul_f32 v[112:113], v[34:35], v[112:113]              // 0000000054FC: D3B14070 1802E122
	v_pk_mul_f32 v[114:115], v[34:35], v[114:115]              // 000000005504: D3B14072 1802E522
	v_pk_mul_f32 v[116:117], v[34:35], v[116:117]              // 00000000550C: D3B14074 1802E922
	v_pk_mul_f32 v[118:119], v[34:35], v[118:119]              // 000000005514: D3B14076 1802ED22
	v_pk_mul_f32 v[120:121], v[34:35], v[120:121]              // 00000000551C: D3B14078 1802F122
	s_waitcnt lgkmcnt(0)                                       // 000000005524: BF8CC07F
	s_cmp_le_i32 s83, s82                                      // 000000005528: BF055253
	s_cbranch_scc1 label_0CAF                                  // 00000000552C: BF850023
	s_add_u32 s57, s82, 1                                      // 000000005530: 80398152
	v_mov_b32_e32 v38, s57                                     // 000000005534: 7E4C0239
	s_sub_u32 s56, s83, 63                                     // 000000005538: 80B8BF53
	s_mul_i32 s57, s7, 16                                      // 00000000553C: 92399007
	v_lshrrev_b32_e32 v47, 4, v0                               // 000000005540: 205E0084
	v_mul_i32_i24_e32 v47, 4, v47                              // 000000005544: 0C5E5E84
	v_add_u32_e32 v47, s56, v47                                // 000000005548: 685E5E38
	v_add_u32_e32 v47, s57, v47                                // 00000000554C: 685E5E39
	v_add_u32_e32 v48, 1, v47                                  // 000000005550: 68605E81
	v_add_u32_e32 v49, 2, v47                                  // 000000005554: 68625E82
	v_add_u32_e32 v50, 3, v47                                  // 000000005558: 68645E83
	v_cmp_le_u32_e64 s[32:33], v47, v38                        // 00000000555C: D0CB0020 00024D2F
	v_add_u32_e32 v47, 64, v47                                 // 000000005564: 685E5EC0
	s_nop 0                                                    // 000000005568: BF800000
	v_cndmask_b32_e64 v86, v11, v86, s[32:33]                  // 00000000556C: D1000056 0082AD0B
	v_cmp_le_u32_e64 s[32:33], v48, v38                        // 000000005574: D0CB0020 00024D30
	v_add_u32_e32 v48, 64, v48                                 // 00000000557C: 686060C0
	s_nop 0                                                    // 000000005580: BF800000
	v_cndmask_b32_e64 v87, v11, v87, s[32:33]                  // 000000005584: D1000057 0082AF0B
	v_cmp_le_u32_e64 s[32:33], v49, v38                        // 00000000558C: D0CB0020 00024D31
	v_add_u32_e32 v49, 64, v49                                 // 000000005594: 686262C0
	s_nop 0                                                    // 000000005598: BF800000
	v_cndmask_b32_e64 v88, v11, v88, s[32:33]                  // 00000000559C: D1000058 0082B10B
	v_cmp_le_u32_e64 s[32:33], v50, v38                        // 0000000055A4: D0CB0020 00024D32
	v_add_u32_e32 v50, 64, v50                                 // 0000000055AC: 686464C0
	s_nop 0                                                    // 0000000055B0: BF800000
	v_cndmask_b32_e64 v89, v11, v89, s[32:33]                  // 0000000055B4: D1000059 0082B30B

00000000000055bc <label_0CAF>:
	s_add_u32 s83, s84, s83                                    // 0000000055BC: 80535354
	v_mov_b32_e32 v8, v86                                      // 0000000055C0: 7E100356
	v_max3_f32 v8, v86, v87, v8                                // 0000000055C4: D1D30008 0422AF56
	v_max3_f32 v8, v88, v89, v8                                // 0000000055CC: D1D30008 0422B358
	ds_write_b32 v5, v8 offset:21120                           // 0000000055D4: D81A5280 00000805
	v_perm_b32 v34, v172, v170, s54                            // 0000000055DC: D1ED0022 00DB55AC
	v_perm_b32 v35, v172, v170, s55                            // 0000000055E4: D1ED0023 00DF55AC
	v_perm_b32 v36, v176, v174, s54                            // 0000000055EC: D1ED0024 00DB5DB0
	v_perm_b32 v37, v176, v174, s55                            // 0000000055F4: D1ED0025 00DF5DB0
	v_perm_b32 v218, v36, v34, s53                             // 0000000055FC: D1ED00DA 00D64524
	v_perm_b32 v219, v36, v34, s52                             // 000000005604: D1ED00DB 00D24524
	v_perm_b32 v220, v37, v35, s53                             // 00000000560C: D1ED00DC 00D64725
	v_perm_b32 v221, v37, v35, s52                             // 000000005614: D1ED00DD 00D24725
	v_accvgpr_write_b32 a110, v218                             // 00000000561C: D3D9406E 180001DA
	v_accvgpr_write_b32 a114, v219                             // 000000005624: D3D94072 180001DB
	v_accvgpr_write_b32 a118, v220                             // 00000000562C: D3D94076 180001DC
	v_accvgpr_write_b32 a122, v221                             // 000000005634: D3D9407A 180001DD
	v_perm_b32 v34, v173, v171, s54                            // 00000000563C: D1ED0022 00DB57AD
	v_perm_b32 v35, v173, v171, s55                            // 000000005644: D1ED0023 00DF57AD
	v_perm_b32 v36, v177, v175, s54                            // 00000000564C: D1ED0024 00DB5FB1
	v_perm_b32 v37, v177, v175, s55                            // 000000005654: D1ED0025 00DF5FB1
	v_perm_b32 v218, v36, v34, s53                             // 00000000565C: D1ED00DA 00D64524
	v_perm_b32 v219, v36, v34, s52                             // 000000005664: D1ED00DB 00D24524
	v_perm_b32 v220, v37, v35, s53                             // 00000000566C: D1ED00DC 00D64725
	v_perm_b32 v221, v37, v35, s52                             // 000000005674: D1ED00DD 00D24725
	v_accvgpr_write_b32 a126, v218                             // 00000000567C: D3D9407E 180001DA
	v_accvgpr_write_b32 a130, v219                             // 000000005684: D3D94082 180001DB
	v_accvgpr_write_b32 a134, v220                             // 00000000568C: D3D94086 180001DC
	v_accvgpr_write_b32 a138, v221                             // 000000005694: D3D9408A 180001DD
	s_waitcnt lgkmcnt(0)                                       // 00000000569C: BF8CC07F
	s_barrier                                                  // 0000000056A0: BF8A0000
	ds_read_b32 v58, v4 offset:21120                           // 0000000056A4: D86C5280 3A000004
	buffer_load_dword v170, v50, s[20:23], 0 offen             // 0000000056AC: E0501000 8005AA32
	buffer_load_dword v171, v50, s[20:23], 0 offen offset:64   // 0000000056B4: E0501040 8005AB32
	ds_read_b32 v59, v4 offset:21184                           // 0000000056BC: D86C52C0 3B000004
	ds_read_b32 v60, v4 offset:21248                           // 0000000056C4: D86C5300 3C000004
	ds_read_b32 v61, v4 offset:21312                           // 0000000056CC: D86C5340 3D000004
	ds_read_b32 v62, v4 offset:21376                           // 0000000056D4: D86C5380 3E000004
	ds_read_b32 v63, v4 offset:21440                           // 0000000056DC: D86C53C0 3F000004
	ds_read_b32 v64, v4 offset:21504                           // 0000000056E4: D86C5400 40000004
	ds_read_b32 v65, v4 offset:21568                           // 0000000056EC: D86C5440 41000004
	ds_read_b32 v66, v4 offset:21632                           // 0000000056F4: D86C5480 42000004
	buffer_load_dword v172, v51, s[20:23], 0 offen             // 0000000056FC: E0501000 8005AC33
	buffer_load_dword v173, v51, s[20:23], 0 offen offset:64   // 000000005704: E0501040 8005AD33
	ds_read_b32 v67, v4 offset:21696                           // 00000000570C: D86C54C0 43000004
	ds_read_b32 v68, v4 offset:21760                           // 000000005714: D86C5500 44000004
	ds_read_b32 v69, v4 offset:21824                           // 00000000571C: D86C5540 45000004
	ds_read_b32 v70, v4 offset:21888                           // 000000005724: D86C5580 46000004
	ds_read_b32 v71, v4 offset:21952                           // 00000000572C: D86C55C0 47000004
	ds_read_b32 v72, v4 offset:22016                           // 000000005734: D86C5600 48000004
	ds_read_b32 v73, v4 offset:22080                           // 00000000573C: D86C5640 49000004
	v_perm_b32 v34, v180, v178, s54                            // 000000005744: D1ED0022 00DB65B4
	v_perm_b32 v35, v180, v178, s55                            // 00000000574C: D1ED0023 00DF65B4
	v_perm_b32 v36, v184, v182, s54                            // 000000005754: D1ED0024 00DB6DB8
	v_perm_b32 v37, v184, v182, s55                            // 00000000575C: D1ED0025 00DF6DB8
	v_perm_b32 v218, v36, v34, s53                             // 000000005764: D1ED00DA 00D64524
	v_perm_b32 v219, v36, v34, s52                             // 00000000576C: D1ED00DB 00D24524
	v_perm_b32 v220, v37, v35, s53                             // 000000005774: D1ED00DC 00D64725
	v_perm_b32 v221, v37, v35, s52                             // 00000000577C: D1ED00DD 00D24725
	v_accvgpr_write_b32 a111, v218                             // 000000005784: D3D9406F 180001DA
	v_accvgpr_write_b32 a115, v219                             // 00000000578C: D3D94073 180001DB
	v_accvgpr_write_b32 a119, v220                             // 000000005794: D3D94077 180001DC
	v_accvgpr_write_b32 a123, v221                             // 00000000579C: D3D9407B 180001DD
	buffer_load_dword v174, v52, s[20:23], 0 offen             // 0000000057A4: E0501000 8005AE34
	buffer_load_dword v175, v52, s[20:23], 0 offen offset:64   // 0000000057AC: E0501040 8005AF34
	v_perm_b32 v34, v181, v179, s54                            // 0000000057B4: D1ED0022 00DB67B5
	v_perm_b32 v35, v181, v179, s55                            // 0000000057BC: D1ED0023 00DF67B5
	v_perm_b32 v36, v185, v183, s54                            // 0000000057C4: D1ED0024 00DB6FB9
	v_perm_b32 v37, v185, v183, s55                            // 0000000057CC: D1ED0025 00DF6FB9
	v_perm_b32 v218, v36, v34, s53                             // 0000000057D4: D1ED00DA 00D64524
	v_perm_b32 v219, v36, v34, s52                             // 0000000057DC: D1ED00DB 00D24524
	v_perm_b32 v220, v37, v35, s53                             // 0000000057E4: D1ED00DC 00D64725
	v_perm_b32 v221, v37, v35, s52                             // 0000000057EC: D1ED00DD 00D24725
	v_accvgpr_write_b32 a127, v218                             // 0000000057F4: D3D9407F 180001DA
	v_accvgpr_write_b32 a131, v219                             // 0000000057FC: D3D94083 180001DB
	v_accvgpr_write_b32 a135, v220                             // 000000005804: D3D94087 180001DC
	v_accvgpr_write_b32 a139, v221                             // 00000000580C: D3D9408B 180001DD
	s_waitcnt lgkmcnt(0)                                       // 000000005814: BF8CC07F
	v_max3_f32 v8, v58, v59, v8                                // 000000005818: D1D30008 0422773A
	v_max3_f32 v8, v60, v61, v8                                // 000000005820: D1D30008 04227B3C
	v_max3_f32 v8, v62, v63, v8                                // 000000005828: D1D30008 04227F3E
	v_max3_f32 v8, v64, v65, v8                                // 000000005830: D1D30008 04228340
	v_max3_f32 v8, v66, v67, v8                                // 000000005838: D1D30008 04228742
	v_max3_f32 v8, v68, v69, v8                                // 000000005840: D1D30008 04228B44
	v_max3_f32 v8, v70, v71, v8                                // 000000005848: D1D30008 04228F46
	v_max3_f32 v8, v72, v73, v8                                // 000000005850: D1D30008 04229348
	buffer_load_dword v176, v53, s[20:23], 0 offen             // 000000005858: E0501000 8005B035
	buffer_load_dword v177, v53, s[20:23], 0 offen offset:64   // 000000005860: E0501040 8005B135
	v_cmp_eq_u32_e64 s[32:33], v11, v13                        // 000000005868: D0CA0020 00021B0B
	v_max_f32_e32 v14, v8, v13                                 // 000000005870: 161C1B08
	v_sub_f32_e32 v21, v13, v14                                // 000000005874: 042A1D0D
	v_cndmask_b32_e64 v21, v21, 0, s[32:33]                    // 000000005878: D1000015 00810115
	v_mov_b32_e32 v13, v14                                     // 000000005880: 7E1A030E
	v_mul_f32_e32 v9, s5, v14                                  // 000000005884: 0A121C05
	v_mul_f32_e32 v21, s5, v21                                 // 000000005888: 0A2A2A05
	v_exp_f32_e32 v21, v21                                     // 00000000588C: 7E2A4115
	buffer_load_dword v178, v54, s[20:23], 0 offen             // 000000005890: E0501000 8005B236
	buffer_load_dword v179, v54, s[20:23], 0 offen offset:64   // 000000005898: E0501040 8005B336
	v_fma_f32 v86, v86, s5, -v9                                // 0000000058A0: D1CB0056 84240B56
	v_fma_f32 v87, v87, s5, -v9                                // 0000000058A8: D1CB0057 84240B57
	v_fma_f32 v88, v88, s5, -v9                                // 0000000058B0: D1CB0058 84240B58
	v_fma_f32 v89, v89, s5, -v9                                // 0000000058B8: D1CB0059 84240B59
	v_exp_f32_e32 v86, v86                                     // 0000000058C0: 7EAC4156
	v_exp_f32_e32 v87, v87                                     // 0000000058C4: 7EAE4157
	v_exp_f32_e32 v88, v88                                     // 0000000058C8: 7EB04158
	v_exp_f32_e32 v89, v89                                     // 0000000058CC: 7EB24159
	buffer_load_dword v180, v55, s[20:23], 0 offen             // 0000000058D0: E0501000 8005B437
	buffer_load_dword v181, v55, s[20:23], 0 offen offset:64   // 0000000058D8: E0501040 8005B537
	v_mul_f32_e32 v16, v21, v16                                // 0000000058E0: 0A202115
	v_mov_b32_e32 v17, v86                                     // 0000000058E4: 7E220356
	v_add_f32_e32 v17, v87, v17                                // 0000000058E8: 02222357
	v_add_f32_e32 v17, v88, v17                                // 0000000058EC: 02222358
	v_add_f32_e32 v17, v89, v17                                // 0000000058F0: 02222359
	v_add_f32_e32 v16, v17, v16                                // 0000000058F4: 02202111
	buffer_load_dword v182, v56, s[20:23], 0 offen             // 0000000058F8: E0501000 8005B638
	buffer_load_dword v183, v56, s[20:23], 0 offen offset:64   // 000000005900: E0501040 8005B738
	v_cvt_pk_fp8_f32 v86, v86, v87                             // 000000005908: D2A20056 0002AF56
	v_cvt_pk_fp8_f32 v86, v88, v89 op_sel:[0,0,1]              // 000000005910: D2A24056 0002B358
	ds_write_b32 v7, v86                                       // 000000005918: D81A0000 00005607
	buffer_load_dword v184, v57, s[20:23], 0 offen             // 000000005920: E0501000 8005B839
	buffer_load_dword v185, v57, s[20:23], 0 offen offset:64   // 000000005928: E0501040 8005B939
	v_mov_b32_e32 v34, v21                                     // 000000005930: 7E440315
	v_mov_b32_e32 v35, v21                                     // 000000005934: 7E460315
	v_pk_mul_f32 v[122:123], v[34:35], v[122:123]              // 000000005938: D3B1407A 1802F522
	v_pk_mul_f32 v[124:125], v[34:35], v[124:125]              // 000000005940: D3B1407C 1802F922
	v_pk_mul_f32 v[126:127], v[34:35], v[126:127]              // 000000005948: D3B1407E 1802FD22
	v_pk_mul_f32 v[128:129], v[34:35], v[128:129]              // 000000005950: D3B14080 18030122
	v_pk_mul_f32 v[130:131], v[34:35], v[130:131]              // 000000005958: D3B14082 18030522
	v_pk_mul_f32 v[132:133], v[34:35], v[132:133]              // 000000005960: D3B14084 18030922
	v_pk_mul_f32 v[134:135], v[34:35], v[134:135]              // 000000005968: D3B14086 18030D22
	v_pk_mul_f32 v[136:137], v[34:35], v[136:137]              // 000000005970: D3B14088 18031122
	v_pk_mul_f32 v[138:139], v[34:35], v[138:139]              // 000000005978: D3B1408A 18031522
	v_pk_mul_f32 v[140:141], v[34:35], v[140:141]              // 000000005980: D3B1408C 18031922
	v_pk_mul_f32 v[142:143], v[34:35], v[142:143]              // 000000005988: D3B1408E 18031D22
	v_pk_mul_f32 v[144:145], v[34:35], v[144:145]              // 000000005990: D3B14090 18032122
	v_pk_mul_f32 v[146:147], v[34:35], v[146:147]              // 000000005998: D3B14092 18032522
	v_pk_mul_f32 v[148:149], v[34:35], v[148:149]              // 0000000059A0: D3B14094 18032922
	v_pk_mul_f32 v[150:151], v[34:35], v[150:151]              // 0000000059A8: D3B14096 18032D22
	v_pk_mul_f32 v[152:153], v[34:35], v[152:153]              // 0000000059B0: D3B14098 18033122
	s_waitcnt lgkmcnt(0)                                       // 0000000059B8: BF8CC07F
	s_barrier                                                  // 0000000059BC: BF8A0000
	ds_read_b64 v[86:87], v6                                   // 0000000059C0: D8EC0000 56000006
	ds_read_b64 v[88:89], v6 offset:32                         // 0000000059C8: D8EC0020 58000006
	v_mul_u32_u24_dpp v42, v27, v10 row_newbcast:0 row_mask:0xf bank_mask:0xf// 0000000059D0: 105414FA FF01501B
	v_mul_u32_u24_dpp v43, v27, v10 row_newbcast:1 row_mask:0xf bank_mask:0xf// 0000000059D8: 105614FA FF01511B
	v_mul_u32_u24_dpp v44, v27, v10 row_newbcast:2 row_mask:0xf bank_mask:0xf// 0000000059E0: 105814FA FF01521B
	v_mul_u32_u24_dpp v45, v27, v10 row_newbcast:3 row_mask:0xf bank_mask:0xf// 0000000059E8: 105A14FA FF01531B
	v_mul_u32_u24_dpp v46, v27, v10 row_newbcast:4 row_mask:0xf bank_mask:0xf// 0000000059F0: 105C14FA FF01541B
	v_mul_u32_u24_dpp v47, v27, v10 row_newbcast:5 row_mask:0xf bank_mask:0xf// 0000000059F8: 105E14FA FF01551B
	v_mul_u32_u24_dpp v48, v27, v10 row_newbcast:6 row_mask:0xf bank_mask:0xf// 000000005A00: 106014FA FF01561B
	v_mul_u32_u24_dpp v49, v27, v10 row_newbcast:7 row_mask:0xf bank_mask:0xf// 000000005A08: 106214FA FF01571B
	v_mul_u32_u24_dpp v50, v27, v10 row_newbcast:8 row_mask:0xf bank_mask:0xf// 000000005A10: 106414FA FF01581B
	v_mul_u32_u24_dpp v51, v27, v10 row_newbcast:9 row_mask:0xf bank_mask:0xf// 000000005A18: 106614FA FF01591B
	v_mul_u32_u24_dpp v52, v27, v10 row_newbcast:10 row_mask:0xf bank_mask:0xf// 000000005A20: 106814FA FF015A1B
	v_mul_u32_u24_dpp v53, v27, v10 row_newbcast:11 row_mask:0xf bank_mask:0xf// 000000005A28: 106A14FA FF015B1B
	v_mul_u32_u24_dpp v54, v27, v10 row_newbcast:12 row_mask:0xf bank_mask:0xf// 000000005A30: 106C14FA FF015C1B
	v_mul_u32_u24_dpp v55, v27, v10 row_newbcast:13 row_mask:0xf bank_mask:0xf// 000000005A38: 106E14FA FF015D1B
	v_mul_u32_u24_dpp v56, v27, v10 row_newbcast:14 row_mask:0xf bank_mask:0xf// 000000005A40: 107014FA FF015E1B
	v_mul_u32_u24_dpp v57, v27, v10 row_newbcast:15 row_mask:0xf bank_mask:0xf// 000000005A48: 107214FA FF015F1B
	s_mov_b32 s56, m0                                          // 000000005A50: BEB8007C
	s_set_gpr_idx_on s51, gpr_idx(SRC0)                        // 000000005A54: BF110133
	v_add_u32_e32 v38, v42, v3                                 // 000000005A58: 684C072A
	v_add_u32_e32 v39, v43, v3                                 // 000000005A5C: 684E072B
	v_add_u32_e32 v40, v44, v3                                 // 000000005A60: 6850072C
	v_add_u32_e32 v41, v45, v3                                 // 000000005A64: 6852072D
	s_set_gpr_idx_off                                          // 000000005A68: BF9C0000
	s_mov_b32 m0, s56                                          // 000000005A6C: BEFC0038
	v_add_u32_e32 v42, v42, v2                                 // 000000005A70: 6854052A
	v_add_u32_e32 v43, v43, v2                                 // 000000005A74: 6856052B
	v_add_u32_e32 v44, v44, v2                                 // 000000005A78: 6858052C
	v_add_u32_e32 v45, v45, v2                                 // 000000005A7C: 685A052D
	v_add_u32_e32 v46, v46, v2                                 // 000000005A80: 685C052E
	v_add_u32_e32 v47, v47, v2                                 // 000000005A84: 685E052F
	v_add_u32_e32 v48, v48, v2                                 // 000000005A88: 68600530
	v_add_u32_e32 v49, v49, v2                                 // 000000005A8C: 68620531
	v_add_u32_e32 v50, v50, v2                                 // 000000005A90: 68640532
	v_add_u32_e32 v51, v51, v2                                 // 000000005A94: 68660533
	v_add_u32_e32 v52, v52, v2                                 // 000000005A98: 68680534
	v_add_u32_e32 v53, v53, v2                                 // 000000005A9C: 686A0535
	v_add_u32_e32 v54, v54, v2                                 // 000000005AA0: 686C0536
	v_add_u32_e32 v55, v55, v2                                 // 000000005AA4: 686E0537
	v_add_u32_e32 v56, v56, v2                                 // 000000005AA8: 68700538
	v_add_u32_e32 v57, v57, v2                                 // 000000005AAC: 68720539
	s_waitcnt lgkmcnt(0)                                       // 000000005AB0: BF8CC07F
	s_waitcnt vmcnt(37)                                        // 000000005AB4: BF8C8F75
	v_mfma_f32_16x16x32_fp8_fp8 v[90:93], a[108:109], v[82:83], v[90:93]// 000000005AB8: D3F3005A 0D6AA56C
	ds_write_b32 v22, v202                                     // 000000005AC0: D81A0000 0000CA16
	ds_write_b32 v22, v203 offset:64                           // 000000005AC8: D81A0040 0000CB16
	v_mfma_f32_16x16x32_fp8_fp8 v[90:93], a[110:111], v[84:85], v[90:93]// 000000005AD0: D3F3005A 0D6AA96E
	v_mfma_f32_16x16x32_fp8_fp8 v[94:97], a[112:113], v[82:83], v[94:97]// 000000005AD8: D3F3005E 0D7AA570
	ds_write_b32 v22, v204 offset:4128                         // 000000005AE0: D81A1020 0000CC16
	ds_write_b32 v22, v205 offset:4192                         // 000000005AE8: D81A1060 0000CD16
	v_mfma_f32_16x16x32_fp8_fp8 v[94:97], a[114:115], v[84:85], v[94:97]// 000000005AF0: D3F3005E 0D7AA972
	v_mfma_f32_16x16x32_fp8_fp8 v[98:101], a[116:117], v[82:83], v[98:101]// 000000005AF8: D3F30062 0D8AA574
	ds_write_b32 v22, v206 offset:8256                         // 000000005B00: D81A2040 0000CE16
	ds_write_b32 v22, v207 offset:8320                         // 000000005B08: D81A2080 0000CF16
	v_mfma_f32_16x16x32_fp8_fp8 v[98:101], a[118:119], v[84:85], v[98:101]// 000000005B10: D3F30062 0D8AA976
	v_mfma_f32_16x16x32_fp8_fp8 v[102:105], a[120:121], v[82:83], v[102:105]// 000000005B18: D3F30066 0D9AA578
	ds_write_b32 v22, v208 offset:12384                        // 000000005B20: D81A3060 0000D016
	ds_write_b32 v22, v209 offset:12448                        // 000000005B28: D81A30A0 0000D116
	v_mfma_f32_16x16x32_fp8_fp8 v[102:105], a[122:123], v[84:85], v[102:105]// 000000005B30: D3F30066 0D9AA97A
	v_mfma_f32_16x16x32_fp8_fp8 v[106:109], a[124:125], v[82:83], v[106:109]// 000000005B38: D3F3006A 0DAAA57C
	ds_write_b32 v22, v210 offset:512                          // 000000005B40: D81A0200 0000D216
	ds_write_b32 v22, v211 offset:576                          // 000000005B48: D81A0240 0000D316
	v_mfma_f32_16x16x32_fp8_fp8 v[106:109], a[126:127], v[84:85], v[106:109]// 000000005B50: D3F3006A 0DAAA97E
	v_mfma_f32_16x16x32_fp8_fp8 v[110:113], a[128:129], v[82:83], v[110:113]// 000000005B58: D3F3006E 0DBAA580
	ds_write_b32 v22, v212 offset:4640                         // 000000005B60: D81A1220 0000D416
	ds_write_b32 v22, v213 offset:4704                         // 000000005B68: D81A1260 0000D516
	v_mfma_f32_16x16x32_fp8_fp8 v[110:113], a[130:131], v[84:85], v[110:113]// 000000005B70: D3F3006E 0DBAA982
	v_mfma_f32_16x16x32_fp8_fp8 v[114:117], a[132:133], v[82:83], v[114:117]// 000000005B78: D3F30072 0DCAA584
	ds_write_b32 v22, v214 offset:8768                         // 000000005B80: D81A2240 0000D616
	ds_write_b32 v22, v215 offset:8832                         // 000000005B88: D81A2280 0000D716
	v_mfma_f32_16x16x32_fp8_fp8 v[114:117], a[134:135], v[84:85], v[114:117]// 000000005B90: D3F30072 0DCAA986
	v_mfma_f32_16x16x32_fp8_fp8 v[118:121], a[136:137], v[82:83], v[118:121]// 000000005B98: D3F30076 0DDAA588
	ds_write_b32 v22, v216 offset:12896                        // 000000005BA0: D81A3260 0000D816
	ds_write_b32 v22, v217 offset:12960                        // 000000005BA8: D81A32A0 0000D916
	v_mfma_f32_16x16x32_fp8_fp8 v[118:121], a[138:139], v[84:85], v[118:121]// 000000005BB0: D3F30076 0DDAA98A
	ds_read_b64 a[104:105], v25 offset:16512                   // 000000005BB8: DAEC4080 68000019
	ds_read_b64 a[106:107], v25 offset:16520                   // 000000005BC0: DAEC4088 6A000019
	v_mfma_f32_16x16x32_fp8_fp8 v[122:125], a[108:109], v[86:87], v[122:125]// 000000005BC8: D3F3007A 0DEAAD6C
	v_mfma_f32_16x16x32_fp8_fp8 v[122:125], a[110:111], v[88:89], v[122:125]// 000000005BD0: D3F3007A 0DEAB16E
	s_waitcnt lgkmcnt(4)                                       // 000000005BD8: BF8CC47F
	s_barrier                                                  // 000000005BDC: BF8A0000
	v_mfma_f32_16x16x32_fp8_fp8 v[126:129], a[112:113], v[86:87], v[126:129]// 000000005BE0: D3F3007E 0DFAAD70
	ds_read_b128 a[72:75], v24                                 // 000000005BE8: DBFE0000 48000018
	v_mfma_f32_16x16x32_fp8_fp8 v[126:129], a[114:115], v[88:89], v[126:129]// 000000005BF0: D3F3007E 0DFAB172
	ds_read_b128 a[76:79], v24 offset:64                       // 000000005BF8: DBFE0040 4C000018
	v_mfma_f32_16x16x32_fp8_fp8 v[130:133], a[116:117], v[86:87], v[130:133]// 000000005C00: D3F30082 0E0AAD74
	ds_read_b128 a[80:83], v24 offset:128                      // 000000005C08: DBFE0080 50000018
	v_mfma_f32_16x16x32_fp8_fp8 v[130:133], a[118:119], v[88:89], v[130:133]// 000000005C10: D3F30082 0E0AB176
	ds_read_b128 a[84:87], v24 offset:192                      // 000000005C18: DBFE00C0 54000018
	v_mfma_f32_16x16x32_fp8_fp8 v[134:137], a[120:121], v[86:87], v[134:137]// 000000005C20: D3F30086 0E1AAD78
	ds_read_b128 a[88:91], v24 offset:256                      // 000000005C28: DBFE0100 58000018
	v_mfma_f32_16x16x32_fp8_fp8 v[134:137], a[122:123], v[88:89], v[134:137]// 000000005C30: D3F30086 0E1AB17A
	ds_read_b128 a[92:95], v24 offset:320                      // 000000005C38: DBFE0140 5C000018
	v_mfma_f32_16x16x32_fp8_fp8 v[138:141], a[124:125], v[86:87], v[138:141]// 000000005C40: D3F3008A 0E2AAD7C
	ds_read_b128 a[96:99], v24 offset:384                      // 000000005C48: DBFE0180 60000018
	v_mfma_f32_16x16x32_fp8_fp8 v[138:141], a[126:127], v[88:89], v[138:141]// 000000005C50: D3F3008A 0E2AB17E
	ds_read_b128 a[100:103], v24 offset:448                    // 000000005C58: DBFE01C0 64000018
	v_mfma_f32_16x16x32_fp8_fp8 v[142:145], a[128:129], v[86:87], v[142:145]// 000000005C60: D3F3008E 0E3AAD80
	v_mfma_f32_16x16x32_fp8_fp8 v[142:145], a[130:131], v[88:89], v[142:145]// 000000005C68: D3F3008E 0E3AB182
	v_mfma_f32_16x16x32_fp8_fp8 v[146:149], a[132:133], v[86:87], v[146:149]// 000000005C70: D3F30092 0E4AAD84
	v_mfma_f32_16x16x32_fp8_fp8 v[146:149], a[134:135], v[88:89], v[146:149]// 000000005C78: D3F30092 0E4AB186
	v_mfma_f32_16x16x32_fp8_fp8 v[150:153], a[136:137], v[86:87], v[150:153]// 000000005C80: D3F30096 0E5AAD88
	v_mfma_f32_16x16x32_fp8_fp8 v[150:153], a[138:139], v[88:89], v[150:153]// 000000005C88: D3F30096 0E5AB18A
	s_addk_i32 s70, 0x1                                        // 000000005C90: B7460001
	s_cmp_lt_i32 s70, s71                                      // 000000005C94: BF044746
	s_cbranch_scc0 label_0ADE                                  // 000000005C98: BF84FC77
	s_waitcnt vmcnt(16) lgkmcnt(0)                             // 000000005C9C: BF8C4070
	s_barrier                                                  // 000000005CA0: BF8A0000
	v_mfma_f32_16x16x32_fp8_fp8 v[82:85], a[72:73], a[0:1], 0  // 000000005CA4: D3F30052 1A020148
	buffer_load_dword v27, v28, s[24:27], 0 offen              // 000000005CAC: E0501000 80061B1C
	v_mfma_f32_16x16x32_fp8_fp8 v[82:85], a[74:75], a[2:3], v[82:85]// 000000005CB4: D3F30052 1D4A054A
	ds_write_b32 v22, v154                                     // 000000005CBC: D81A0000 00009A16
	ds_write_b32 v22, v155 offset:64                           // 000000005CC4: D81A0040 00009B16
	v_mfma_f32_16x16x32_fp8_fp8 v[82:85], a[76:77], a[4:5], v[82:85]// 000000005CCC: D3F30052 1D4A094C
	v_mfma_f32_16x16x32_fp8_fp8 v[82:85], a[78:79], a[6:7], v[82:85]// 000000005CD4: D3F30052 1D4A0D4E
	ds_write_b32 v22, v156 offset:4128                         // 000000005CDC: D81A1020 00009C16
	ds_write_b32 v22, v157 offset:4192                         // 000000005CE4: D81A1060 00009D16
	v_mfma_f32_16x16x32_fp8_fp8 v[82:85], a[80:81], a[8:9], v[82:85]// 000000005CEC: D3F30052 1D4A1150
	v_mfma_f32_16x16x32_fp8_fp8 v[82:85], a[82:83], a[10:11], v[82:85]// 000000005CF4: D3F30052 1D4A1552
	ds_write_b32 v22, v158 offset:8256                         // 000000005CFC: D81A2040 00009E16
	ds_write_b32 v22, v159 offset:8320                         // 000000005D04: D81A2080 00009F16
	v_mfma_f32_16x16x32_fp8_fp8 v[82:85], a[84:85], a[12:13], v[82:85]// 000000005D0C: D3F30052 1D4A1954
	v_mfma_f32_16x16x32_fp8_fp8 v[82:85], a[86:87], a[14:15], v[82:85]// 000000005D14: D3F30052 1D4A1D56
	ds_write_b32 v22, v160 offset:12384                        // 000000005D1C: D81A3060 0000A016
	ds_write_b32 v22, v161 offset:12448                        // 000000005D24: D81A30A0 0000A116
	v_mfma_f32_16x16x32_fp8_fp8 v[82:85], a[88:89], a[16:17], v[82:85]// 000000005D2C: D3F30052 1D4A2158
	v_mfma_f32_16x16x32_fp8_fp8 v[82:85], a[90:91], a[18:19], v[82:85]// 000000005D34: D3F30052 1D4A255A
	ds_write_b32 v22, v162 offset:512                          // 000000005D3C: D81A0200 0000A216
	ds_write_b32 v22, v163 offset:576                          // 000000005D44: D81A0240 0000A316
	v_mfma_f32_16x16x32_fp8_fp8 v[82:85], a[92:93], a[20:21], v[82:85]// 000000005D4C: D3F30052 1D4A295C
	v_mfma_f32_16x16x32_fp8_fp8 v[82:85], a[94:95], a[22:23], v[82:85]// 000000005D54: D3F30052 1D4A2D5E
	ds_write_b32 v22, v164 offset:4640                         // 000000005D5C: D81A1220 0000A416
	ds_write_b32 v22, v165 offset:4704                         // 000000005D64: D81A1260 0000A516
	v_mfma_f32_16x16x32_fp8_fp8 v[82:85], a[96:97], a[24:25], v[82:85]// 000000005D6C: D3F30052 1D4A3160
	v_mfma_f32_16x16x32_fp8_fp8 v[82:85], a[98:99], a[26:27], v[82:85]// 000000005D74: D3F30052 1D4A3562
	ds_write_b32 v22, v166 offset:8768                         // 000000005D7C: D81A2240 0000A616
	ds_write_b32 v22, v167 offset:8832                         // 000000005D84: D81A2280 0000A716
	v_mfma_f32_16x16x32_fp8_fp8 v[82:85], a[100:101], a[28:29], v[82:85]// 000000005D8C: D3F30052 1D4A3964
	v_mfma_f32_16x16x32_fp8_fp8 v[82:85], a[102:103], a[30:31], v[82:85]// 000000005D94: D3F30052 1D4A3D66
	ds_write_b32 v22, v168 offset:12896                        // 000000005D9C: D81A3260 0000A816
	ds_write_b32 v22, v169 offset:12960                        // 000000005DA4: D81A32A0 0000A916
	v_mfma_f32_16x16x32_fp8_fp8 v[82:85], a[104:105], a[32:33], v[82:85]// 000000005DAC: D3F30052 1D4A4168
	buffer_load_dword v78, v38, s[20:23], 0 offen              // 000000005DB4: E0501000 80054E26
	buffer_load_dword v79, v39, s[20:23], 0 offen              // 000000005DBC: E0501000 80054F27
	v_mfma_f32_16x16x32_fp8_fp8 v[82:85], a[106:107], a[34:35], v[82:85]// 000000005DC4: D3F30052 1D4A456A
	ds_write_b32 v23, v74 offset:16512                         // 000000005DCC: D81A4080 00004A17
	ds_write_b32 v23, v75 offset:16584                         // 000000005DD4: D81A40C8 00004B17
	v_add_u32_e32 v28, s73, v28                                // 000000005DDC: 68383849
	v_mfma_f32_16x16x32_fp8_fp8 v[86:89], a[72:73], a[36:37], 0// 000000005DE0: D3F30056 1A024948
	v_mfma_f32_16x16x32_fp8_fp8 v[86:89], a[74:75], a[38:39], v[86:89]// 000000005DE8: D3F30056 1D5A4D4A
	v_mfma_f32_16x16x32_fp8_fp8 v[86:89], a[76:77], a[40:41], v[86:89]// 000000005DF0: D3F30056 1D5A514C
	v_mfma_f32_16x16x32_fp8_fp8 v[86:89], a[78:79], a[42:43], v[86:89]// 000000005DF8: D3F30056 1D5A554E
	v_mfma_f32_16x16x32_fp8_fp8 v[86:89], a[80:81], a[44:45], v[86:89]// 000000005E00: D3F30056 1D5A5950
	v_mfma_f32_16x16x32_fp8_fp8 v[86:89], a[82:83], a[46:47], v[86:89]// 000000005E08: D3F30056 1D5A5D52
	v_mfma_f32_16x16x32_fp8_fp8 v[86:89], a[84:85], a[48:49], v[86:89]// 000000005E10: D3F30056 1D5A6154
	ds_write_b32 v23, v76 offset:16656                         // 000000005E18: D81A4110 00004C17
	ds_write_b32 v23, v77 offset:16728                         // 000000005E20: D81A4158 00004D17
	v_mfma_f32_16x16x32_fp8_fp8 v[86:89], a[86:87], a[50:51], v[86:89]// 000000005E28: D3F30056 1D5A6556
	buffer_load_dword v80, v40, s[20:23], 0 offen              // 000000005E30: E0501000 80055028
	buffer_load_dword v81, v41, s[20:23], 0 offen              // 000000005E38: E0501000 80055129
	v_mfma_f32_16x16x32_fp8_fp8 v[86:89], a[88:89], a[52:53], v[86:89]// 000000005E40: D3F30056 1D5A6958
	s_waitcnt lgkmcnt(4)                                       // 000000005E48: BF8CC47F
	s_barrier                                                  // 000000005E4C: BF8A0000
	v_mfma_f32_16x16x32_fp8_fp8 v[86:89], a[90:91], a[54:55], v[86:89]// 000000005E50: D3F30056 1D5A6D5A
	v_mfma_f32_16x16x32_fp8_fp8 v[86:89], a[92:93], a[56:57], v[86:89]// 000000005E58: D3F30056 1D5A715C
	v_mfma_f32_16x16x32_fp8_fp8 v[86:89], a[94:95], a[58:59], v[86:89]// 000000005E60: D3F30056 1D5A755E
	v_mfma_f32_16x16x32_fp8_fp8 v[86:89], a[96:97], a[60:61], v[86:89]// 000000005E68: D3F30056 1D5A7960
	v_mfma_f32_16x16x32_fp8_fp8 v[86:89], a[98:99], a[62:63], v[86:89]// 000000005E70: D3F30056 1D5A7D62
	v_mfma_f32_16x16x32_fp8_fp8 v[86:89], a[100:101], a[64:65], v[86:89]// 000000005E78: D3F30056 1D5A8164
	v_mfma_f32_16x16x32_fp8_fp8 v[86:89], a[102:103], a[66:67], v[86:89]// 000000005E80: D3F30056 1D5A8566
	v_mfma_f32_16x16x32_fp8_fp8 v[86:89], a[104:105], a[68:69], v[86:89]// 000000005E88: D3F30056 1D5A8968
	v_mfma_f32_16x16x32_fp8_fp8 v[86:89], a[106:107], a[70:71], v[86:89]// 000000005E90: D3F30056 1D5A8D6A
	s_cmp_le_i32 s83, s82                                      // 000000005E98: BF055253
	s_cbranch_scc1 label_0F0B                                  // 000000005E9C: BF850023
	s_add_u32 s57, s82, 0                                      // 000000005EA0: 80398052
	v_mov_b32_e32 v38, s57                                     // 000000005EA4: 7E4C0239
	s_sub_u32 s56, s83, 63                                     // 000000005EA8: 80B8BF53
	s_mul_i32 s57, s7, 16                                      // 000000005EAC: 92399007
	v_lshrrev_b32_e32 v47, 4, v0                               // 000000005EB0: 205E0084
	v_mul_i32_i24_e32 v47, 4, v47                              // 000000005EB4: 0C5E5E84
	v_add_u32_e32 v47, s56, v47                                // 000000005EB8: 685E5E38
	v_add_u32_e32 v47, s57, v47                                // 000000005EBC: 685E5E39
	v_add_u32_e32 v48, 1, v47                                  // 000000005EC0: 68605E81
	v_add_u32_e32 v49, 2, v47                                  // 000000005EC4: 68625E82
	v_add_u32_e32 v50, 3, v47                                  // 000000005EC8: 68645E83
	v_cmp_le_u32_e64 s[32:33], v47, v38                        // 000000005ECC: D0CB0020 00024D2F
	v_add_u32_e32 v47, 64, v47                                 // 000000005ED4: 685E5EC0
	s_nop 0                                                    // 000000005ED8: BF800000
	v_cndmask_b32_e64 v82, v11, v82, s[32:33]                  // 000000005EDC: D1000052 0082A50B
	v_cmp_le_u32_e64 s[32:33], v48, v38                        // 000000005EE4: D0CB0020 00024D30
	v_add_u32_e32 v48, 64, v48                                 // 000000005EEC: 686060C0
	s_nop 0                                                    // 000000005EF0: BF800000
	v_cndmask_b32_e64 v83, v11, v83, s[32:33]                  // 000000005EF4: D1000053 0082A70B
	v_cmp_le_u32_e64 s[32:33], v49, v38                        // 000000005EFC: D0CB0020 00024D31
	v_add_u32_e32 v49, 64, v49                                 // 000000005F04: 686262C0
	s_nop 0                                                    // 000000005F08: BF800000
	v_cndmask_b32_e64 v84, v11, v84, s[32:33]                  // 000000005F0C: D1000054 0082A90B
	v_cmp_le_u32_e64 s[32:33], v50, v38                        // 000000005F14: D0CB0020 00024D32
	v_add_u32_e32 v50, 64, v50                                 // 000000005F1C: 686464C0
	s_nop 0                                                    // 000000005F20: BF800000
	v_cndmask_b32_e64 v85, v11, v85, s[32:33]                  // 000000005F24: D1000055 0082AB0B

0000000000005f2c <label_0F0B>:
	v_mov_b32_e32 v8, v82                                      // 000000005F2C: 7E100352
	v_max3_f32 v8, v82, v83, v8                                // 000000005F30: D1D30008 0422A752
	v_max3_f32 v8, v84, v85, v8                                // 000000005F38: D1D30008 0422AB54
	ds_write_b32 v5, v8 offset:21120                           // 000000005F40: D81A5280 00000805
	v_perm_b32 v34, v188, v186, s54                            // 000000005F48: D1ED0022 00DB75BC
	v_perm_b32 v35, v188, v186, s55                            // 000000005F50: D1ED0023 00DF75BC
	v_perm_b32 v36, v192, v190, s54                            // 000000005F58: D1ED0024 00DB7DC0
	v_perm_b32 v37, v192, v190, s55                            // 000000005F60: D1ED0025 00DF7DC0
	v_perm_b32 v218, v36, v34, s53                             // 000000005F68: D1ED00DA 00D64524
	v_perm_b32 v219, v36, v34, s52                             // 000000005F70: D1ED00DB 00D24524
	v_perm_b32 v220, v37, v35, s53                             // 000000005F78: D1ED00DC 00D64725
	v_perm_b32 v221, v37, v35, s52                             // 000000005F80: D1ED00DD 00D24725
	v_accvgpr_write_b32 a108, v218                             // 000000005F88: D3D9406C 180001DA
	v_accvgpr_write_b32 a112, v219                             // 000000005F90: D3D94070 180001DB
	v_accvgpr_write_b32 a116, v220                             // 000000005F98: D3D94074 180001DC
	v_accvgpr_write_b32 a120, v221                             // 000000005FA0: D3D94078 180001DD
	v_perm_b32 v34, v189, v187, s54                            // 000000005FA8: D1ED0022 00DB77BD
	v_perm_b32 v35, v189, v187, s55                            // 000000005FB0: D1ED0023 00DF77BD
	v_perm_b32 v36, v193, v191, s54                            // 000000005FB8: D1ED0024 00DB7FC1
	v_perm_b32 v37, v193, v191, s55                            // 000000005FC0: D1ED0025 00DF7FC1
	v_perm_b32 v218, v36, v34, s53                             // 000000005FC8: D1ED00DA 00D64524
	v_perm_b32 v219, v36, v34, s52                             // 000000005FD0: D1ED00DB 00D24524
	v_perm_b32 v220, v37, v35, s53                             // 000000005FD8: D1ED00DC 00D64725
	v_perm_b32 v221, v37, v35, s52                             // 000000005FE0: D1ED00DD 00D24725
	v_accvgpr_write_b32 a124, v218                             // 000000005FE8: D3D9407C 180001DA
	v_accvgpr_write_b32 a128, v219                             // 000000005FF0: D3D94080 180001DB
	v_accvgpr_write_b32 a132, v220                             // 000000005FF8: D3D94084 180001DC
	v_accvgpr_write_b32 a136, v221                             // 000000006000: D3D94088 180001DD
	s_waitcnt lgkmcnt(0)                                       // 000000006008: BF8CC07F
	s_barrier                                                  // 00000000600C: BF8A0000
	ds_read_b32 v58, v4 offset:21120                           // 000000006010: D86C5280 3A000004
	buffer_load_dword v186, v42, s[20:23], 0 offen             // 000000006018: E0501000 8005BA2A
	buffer_load_dword v187, v42, s[20:23], 0 offen offset:64   // 000000006020: E0501040 8005BB2A
	ds_read_b32 v59, v4 offset:21184                           // 000000006028: D86C52C0 3B000004
	ds_read_b32 v60, v4 offset:21248                           // 000000006030: D86C5300 3C000004
	ds_read_b32 v61, v4 offset:21312                           // 000000006038: D86C5340 3D000004
	ds_read_b32 v62, v4 offset:21376                           // 000000006040: D86C5380 3E000004
	ds_read_b32 v63, v4 offset:21440                           // 000000006048: D86C53C0 3F000004
	ds_read_b32 v64, v4 offset:21504                           // 000000006050: D86C5400 40000004
	ds_read_b32 v65, v4 offset:21568                           // 000000006058: D86C5440 41000004
	ds_read_b32 v66, v4 offset:21632                           // 000000006060: D86C5480 42000004
	buffer_load_dword v188, v43, s[20:23], 0 offen             // 000000006068: E0501000 8005BC2B
	buffer_load_dword v189, v43, s[20:23], 0 offen offset:64   // 000000006070: E0501040 8005BD2B
	ds_read_b32 v67, v4 offset:21696                           // 000000006078: D86C54C0 43000004
	ds_read_b32 v68, v4 offset:21760                           // 000000006080: D86C5500 44000004
	ds_read_b32 v69, v4 offset:21824                           // 000000006088: D86C5540 45000004
	ds_read_b32 v70, v4 offset:21888                           // 000000006090: D86C5580 46000004
	ds_read_b32 v71, v4 offset:21952                           // 000000006098: D86C55C0 47000004
	ds_read_b32 v72, v4 offset:22016                           // 0000000060A0: D86C5600 48000004
	ds_read_b32 v73, v4 offset:22080                           // 0000000060A8: D86C5640 49000004
	v_perm_b32 v34, v196, v194, s54                            // 0000000060B0: D1ED0022 00DB85C4
	v_perm_b32 v35, v196, v194, s55                            // 0000000060B8: D1ED0023 00DF85C4
	v_perm_b32 v36, v200, v198, s54                            // 0000000060C0: D1ED0024 00DB8DC8
	v_perm_b32 v37, v200, v198, s55                            // 0000000060C8: D1ED0025 00DF8DC8
	v_perm_b32 v218, v36, v34, s53                             // 0000000060D0: D1ED00DA 00D64524
	v_perm_b32 v219, v36, v34, s52                             // 0000000060D8: D1ED00DB 00D24524
	v_perm_b32 v220, v37, v35, s53                             // 0000000060E0: D1ED00DC 00D64725
	v_perm_b32 v221, v37, v35, s52                             // 0000000060E8: D1ED00DD 00D24725
	v_accvgpr_write_b32 a109, v218                             // 0000000060F0: D3D9406D 180001DA
	v_accvgpr_write_b32 a113, v219                             // 0000000060F8: D3D94071 180001DB
	v_accvgpr_write_b32 a117, v220                             // 000000006100: D3D94075 180001DC
	v_accvgpr_write_b32 a121, v221                             // 000000006108: D3D94079 180001DD
	buffer_load_dword v190, v44, s[20:23], 0 offen             // 000000006110: E0501000 8005BE2C
	buffer_load_dword v191, v44, s[20:23], 0 offen offset:64   // 000000006118: E0501040 8005BF2C
	v_perm_b32 v34, v197, v195, s54                            // 000000006120: D1ED0022 00DB87C5
	v_perm_b32 v35, v197, v195, s55                            // 000000006128: D1ED0023 00DF87C5
	v_perm_b32 v36, v201, v199, s54                            // 000000006130: D1ED0024 00DB8FC9
	v_perm_b32 v37, v201, v199, s55                            // 000000006138: D1ED0025 00DF8FC9
	v_perm_b32 v218, v36, v34, s53                             // 000000006140: D1ED00DA 00D64524
	v_perm_b32 v219, v36, v34, s52                             // 000000006148: D1ED00DB 00D24524
	v_perm_b32 v220, v37, v35, s53                             // 000000006150: D1ED00DC 00D64725
	v_perm_b32 v221, v37, v35, s52                             // 000000006158: D1ED00DD 00D24725
	v_accvgpr_write_b32 a125, v218                             // 000000006160: D3D9407D 180001DA
	v_accvgpr_write_b32 a129, v219                             // 000000006168: D3D94081 180001DB
	v_accvgpr_write_b32 a133, v220                             // 000000006170: D3D94085 180001DC
	v_accvgpr_write_b32 a137, v221                             // 000000006178: D3D94089 180001DD
	s_waitcnt lgkmcnt(0)                                       // 000000006180: BF8CC07F
	v_max3_f32 v8, v58, v59, v8                                // 000000006184: D1D30008 0422773A
	v_max3_f32 v8, v60, v61, v8                                // 00000000618C: D1D30008 04227B3C
	v_max3_f32 v8, v62, v63, v8                                // 000000006194: D1D30008 04227F3E
	v_max3_f32 v8, v64, v65, v8                                // 00000000619C: D1D30008 04228340
	v_max3_f32 v8, v66, v67, v8                                // 0000000061A4: D1D30008 04228742
	v_max3_f32 v8, v68, v69, v8                                // 0000000061AC: D1D30008 04228B44
	v_max3_f32 v8, v70, v71, v8                                // 0000000061B4: D1D30008 04228F46
	v_max3_f32 v8, v72, v73, v8                                // 0000000061BC: D1D30008 04229348
	buffer_load_dword v192, v45, s[20:23], 0 offen             // 0000000061C4: E0501000 8005C02D
	buffer_load_dword v193, v45, s[20:23], 0 offen offset:64   // 0000000061CC: E0501040 8005C12D
	v_cmp_eq_u32_e64 s[32:33], v11, v12                        // 0000000061D4: D0CA0020 0002190B
	v_max_f32_e32 v14, v8, v12                                 // 0000000061DC: 161C1908
	v_sub_f32_e32 v20, v12, v14                                // 0000000061E0: 04281D0C
	v_cndmask_b32_e64 v20, v20, 0, s[32:33]                    // 0000000061E4: D1000014 00810114
	v_mov_b32_e32 v12, v14                                     // 0000000061EC: 7E18030E
	v_mul_f32_e32 v9, s5, v14                                  // 0000000061F0: 0A121C05
	v_mul_f32_e32 v20, s5, v20                                 // 0000000061F4: 0A282805
	v_exp_f32_e32 v20, v20                                     // 0000000061F8: 7E284114
	buffer_load_dword v194, v46, s[20:23], 0 offen             // 0000000061FC: E0501000 8005C22E
	buffer_load_dword v195, v46, s[20:23], 0 offen offset:64   // 000000006204: E0501040 8005C32E
	v_fma_f32 v82, v82, s5, -v9                                // 00000000620C: D1CB0052 84240B52
	v_fma_f32 v83, v83, s5, -v9                                // 000000006214: D1CB0053 84240B53
	v_fma_f32 v84, v84, s5, -v9                                // 00000000621C: D1CB0054 84240B54
	v_fma_f32 v85, v85, s5, -v9                                // 000000006224: D1CB0055 84240B55
	v_exp_f32_e32 v82, v82                                     // 00000000622C: 7EA44152
	v_exp_f32_e32 v83, v83                                     // 000000006230: 7EA64153
	v_exp_f32_e32 v84, v84                                     // 000000006234: 7EA84154
	v_exp_f32_e32 v85, v85                                     // 000000006238: 7EAA4155
	buffer_load_dword v196, v47, s[20:23], 0 offen             // 00000000623C: E0501000 8005C42F
	buffer_load_dword v197, v47, s[20:23], 0 offen offset:64   // 000000006244: E0501040 8005C52F
	v_mul_f32_e32 v15, v20, v15                                // 00000000624C: 0A1E1F14
	v_mov_b32_e32 v17, v82                                     // 000000006250: 7E220352
	v_add_f32_e32 v17, v83, v17                                // 000000006254: 02222353
	v_add_f32_e32 v17, v84, v17                                // 000000006258: 02222354
	v_add_f32_e32 v17, v85, v17                                // 00000000625C: 02222355
	v_add_f32_e32 v15, v17, v15                                // 000000006260: 021E1F11
	buffer_load_dword v198, v48, s[20:23], 0 offen             // 000000006264: E0501000 8005C630
	buffer_load_dword v199, v48, s[20:23], 0 offen offset:64   // 00000000626C: E0501040 8005C730
	v_cvt_pk_fp8_f32 v82, v82, v83                             // 000000006274: D2A20052 0002A752
	v_cvt_pk_fp8_f32 v82, v84, v85 op_sel:[0,0,1]              // 00000000627C: D2A24052 0002AB54
	ds_write_b32 v7, v82                                       // 000000006284: D81A0000 00005207
	buffer_load_dword v200, v49, s[20:23], 0 offen             // 00000000628C: E0501000 8005C831
	buffer_load_dword v201, v49, s[20:23], 0 offen offset:64   // 000000006294: E0501040 8005C931
	s_waitcnt lgkmcnt(0)                                       // 00000000629C: BF8CC07F
	s_barrier                                                  // 0000000062A0: BF8A0000
	ds_read_b64 v[82:83], v6                                   // 0000000062A4: D8EC0000 52000006
	ds_read_b64 v[84:85], v6 offset:32                         // 0000000062AC: D8EC0020 54000006
	v_mov_b32_e32 v34, v20                                     // 0000000062B4: 7E440314
	v_mov_b32_e32 v35, v20                                     // 0000000062B8: 7E460314
	v_pk_mul_f32 v[90:91], v[34:35], v[90:91]                  // 0000000062BC: D3B1405A 1802B522
	v_pk_mul_f32 v[92:93], v[34:35], v[92:93]                  // 0000000062C4: D3B1405C 1802B922
	v_pk_mul_f32 v[94:95], v[34:35], v[94:95]                  // 0000000062CC: D3B1405E 1802BD22
	v_pk_mul_f32 v[96:97], v[34:35], v[96:97]                  // 0000000062D4: D3B14060 1802C122
	v_pk_mul_f32 v[98:99], v[34:35], v[98:99]                  // 0000000062DC: D3B14062 1802C522
	v_pk_mul_f32 v[100:101], v[34:35], v[100:101]              // 0000000062E4: D3B14064 1802C922
	v_pk_mul_f32 v[102:103], v[34:35], v[102:103]              // 0000000062EC: D3B14066 1802CD22
	v_pk_mul_f32 v[104:105], v[34:35], v[104:105]              // 0000000062F4: D3B14068 1802D122
	v_pk_mul_f32 v[106:107], v[34:35], v[106:107]              // 0000000062FC: D3B1406A 1802D522
	v_pk_mul_f32 v[108:109], v[34:35], v[108:109]              // 000000006304: D3B1406C 1802D922
	v_pk_mul_f32 v[110:111], v[34:35], v[110:111]              // 00000000630C: D3B1406E 1802DD22
	v_pk_mul_f32 v[112:113], v[34:35], v[112:113]              // 000000006314: D3B14070 1802E122
	v_pk_mul_f32 v[114:115], v[34:35], v[114:115]              // 00000000631C: D3B14072 1802E522
	v_pk_mul_f32 v[116:117], v[34:35], v[116:117]              // 000000006324: D3B14074 1802E922
	v_pk_mul_f32 v[118:119], v[34:35], v[118:119]              // 00000000632C: D3B14076 1802ED22
	v_pk_mul_f32 v[120:121], v[34:35], v[120:121]              // 000000006334: D3B14078 1802F122
	s_waitcnt lgkmcnt(0)                                       // 00000000633C: BF8CC07F
	s_cmp_le_i32 s83, s82                                      // 000000006340: BF055253
	s_cbranch_scc1 label_1035                                  // 000000006344: BF850023
	s_add_u32 s57, s82, 1                                      // 000000006348: 80398152
	v_mov_b32_e32 v38, s57                                     // 00000000634C: 7E4C0239
	s_sub_u32 s56, s83, 63                                     // 000000006350: 80B8BF53
	s_mul_i32 s57, s7, 16                                      // 000000006354: 92399007
	v_lshrrev_b32_e32 v47, 4, v0                               // 000000006358: 205E0084
	v_mul_i32_i24_e32 v47, 4, v47                              // 00000000635C: 0C5E5E84
	v_add_u32_e32 v47, s56, v47                                // 000000006360: 685E5E38
	v_add_u32_e32 v47, s57, v47                                // 000000006364: 685E5E39
	v_add_u32_e32 v48, 1, v47                                  // 000000006368: 68605E81
	v_add_u32_e32 v49, 2, v47                                  // 00000000636C: 68625E82
	v_add_u32_e32 v50, 3, v47                                  // 000000006370: 68645E83
	v_cmp_le_u32_e64 s[32:33], v47, v38                        // 000000006374: D0CB0020 00024D2F
	v_add_u32_e32 v47, 64, v47                                 // 00000000637C: 685E5EC0
	s_nop 0                                                    // 000000006380: BF800000
	v_cndmask_b32_e64 v86, v11, v86, s[32:33]                  // 000000006384: D1000056 0082AD0B
	v_cmp_le_u32_e64 s[32:33], v48, v38                        // 00000000638C: D0CB0020 00024D30
	v_add_u32_e32 v48, 64, v48                                 // 000000006394: 686060C0
	s_nop 0                                                    // 000000006398: BF800000
	v_cndmask_b32_e64 v87, v11, v87, s[32:33]                  // 00000000639C: D1000057 0082AF0B
	v_cmp_le_u32_e64 s[32:33], v49, v38                        // 0000000063A4: D0CB0020 00024D31
	v_add_u32_e32 v49, 64, v49                                 // 0000000063AC: 686262C0
	s_nop 0                                                    // 0000000063B0: BF800000
	v_cndmask_b32_e64 v88, v11, v88, s[32:33]                  // 0000000063B4: D1000058 0082B10B
	v_cmp_le_u32_e64 s[32:33], v50, v38                        // 0000000063BC: D0CB0020 00024D32
	v_add_u32_e32 v50, 64, v50                                 // 0000000063C4: 686464C0
	s_nop 0                                                    // 0000000063C8: BF800000
	v_cndmask_b32_e64 v89, v11, v89, s[32:33]                  // 0000000063CC: D1000059 0082B30B

00000000000063d4 <label_1035>:
	s_add_u32 s83, s84, s83                                    // 0000000063D4: 80535354
	v_mov_b32_e32 v8, v86                                      // 0000000063D8: 7E100356
	v_max3_f32 v8, v86, v87, v8                                // 0000000063DC: D1D30008 0422AF56
	v_max3_f32 v8, v88, v89, v8                                // 0000000063E4: D1D30008 0422B358
	ds_write_b32 v5, v8 offset:21120                           // 0000000063EC: D81A5280 00000805
	v_perm_b32 v34, v204, v202, s54                            // 0000000063F4: D1ED0022 00DB95CC
	v_perm_b32 v35, v204, v202, s55                            // 0000000063FC: D1ED0023 00DF95CC
	v_perm_b32 v36, v208, v206, s54                            // 000000006404: D1ED0024 00DB9DD0
	v_perm_b32 v37, v208, v206, s55                            // 00000000640C: D1ED0025 00DF9DD0
	v_perm_b32 v218, v36, v34, s53                             // 000000006414: D1ED00DA 00D64524
	v_perm_b32 v219, v36, v34, s52                             // 00000000641C: D1ED00DB 00D24524
	v_perm_b32 v220, v37, v35, s53                             // 000000006424: D1ED00DC 00D64725
	v_perm_b32 v221, v37, v35, s52                             // 00000000642C: D1ED00DD 00D24725
	v_accvgpr_write_b32 a110, v218                             // 000000006434: D3D9406E 180001DA
	v_accvgpr_write_b32 a114, v219                             // 00000000643C: D3D94072 180001DB
	v_accvgpr_write_b32 a118, v220                             // 000000006444: D3D94076 180001DC
	v_accvgpr_write_b32 a122, v221                             // 00000000644C: D3D9407A 180001DD
	v_perm_b32 v34, v205, v203, s54                            // 000000006454: D1ED0022 00DB97CD
	v_perm_b32 v35, v205, v203, s55                            // 00000000645C: D1ED0023 00DF97CD
	v_perm_b32 v36, v209, v207, s54                            // 000000006464: D1ED0024 00DB9FD1
	v_perm_b32 v37, v209, v207, s55                            // 00000000646C: D1ED0025 00DF9FD1
	v_perm_b32 v218, v36, v34, s53                             // 000000006474: D1ED00DA 00D64524
	v_perm_b32 v219, v36, v34, s52                             // 00000000647C: D1ED00DB 00D24524
	v_perm_b32 v220, v37, v35, s53                             // 000000006484: D1ED00DC 00D64725
	v_perm_b32 v221, v37, v35, s52                             // 00000000648C: D1ED00DD 00D24725
	v_accvgpr_write_b32 a126, v218                             // 000000006494: D3D9407E 180001DA
	v_accvgpr_write_b32 a130, v219                             // 00000000649C: D3D94082 180001DB
	v_accvgpr_write_b32 a134, v220                             // 0000000064A4: D3D94086 180001DC
	v_accvgpr_write_b32 a138, v221                             // 0000000064AC: D3D9408A 180001DD
	s_waitcnt lgkmcnt(0)                                       // 0000000064B4: BF8CC07F
	s_barrier                                                  // 0000000064B8: BF8A0000
	ds_read_b32 v58, v4 offset:21120                           // 0000000064BC: D86C5280 3A000004
	buffer_load_dword v202, v50, s[20:23], 0 offen             // 0000000064C4: E0501000 8005CA32
	buffer_load_dword v203, v50, s[20:23], 0 offen offset:64   // 0000000064CC: E0501040 8005CB32
	ds_read_b32 v59, v4 offset:21184                           // 0000000064D4: D86C52C0 3B000004
	ds_read_b32 v60, v4 offset:21248                           // 0000000064DC: D86C5300 3C000004
	ds_read_b32 v61, v4 offset:21312                           // 0000000064E4: D86C5340 3D000004
	ds_read_b32 v62, v4 offset:21376                           // 0000000064EC: D86C5380 3E000004
	ds_read_b32 v63, v4 offset:21440                           // 0000000064F4: D86C53C0 3F000004
	ds_read_b32 v64, v4 offset:21504                           // 0000000064FC: D86C5400 40000004
	ds_read_b32 v65, v4 offset:21568                           // 000000006504: D86C5440 41000004
	ds_read_b32 v66, v4 offset:21632                           // 00000000650C: D86C5480 42000004
	buffer_load_dword v204, v51, s[20:23], 0 offen             // 000000006514: E0501000 8005CC33
	buffer_load_dword v205, v51, s[20:23], 0 offen offset:64   // 00000000651C: E0501040 8005CD33
	ds_read_b32 v67, v4 offset:21696                           // 000000006524: D86C54C0 43000004
	ds_read_b32 v68, v4 offset:21760                           // 00000000652C: D86C5500 44000004
	ds_read_b32 v69, v4 offset:21824                           // 000000006534: D86C5540 45000004
	ds_read_b32 v70, v4 offset:21888                           // 00000000653C: D86C5580 46000004
	ds_read_b32 v71, v4 offset:21952                           // 000000006544: D86C55C0 47000004
	ds_read_b32 v72, v4 offset:22016                           // 00000000654C: D86C5600 48000004
	ds_read_b32 v73, v4 offset:22080                           // 000000006554: D86C5640 49000004
	v_perm_b32 v34, v212, v210, s54                            // 00000000655C: D1ED0022 00DBA5D4
	v_perm_b32 v35, v212, v210, s55                            // 000000006564: D1ED0023 00DFA5D4
	v_perm_b32 v36, v216, v214, s54                            // 00000000656C: D1ED0024 00DBADD8
	v_perm_b32 v37, v216, v214, s55                            // 000000006574: D1ED0025 00DFADD8
	v_perm_b32 v218, v36, v34, s53                             // 00000000657C: D1ED00DA 00D64524
	v_perm_b32 v219, v36, v34, s52                             // 000000006584: D1ED00DB 00D24524
	v_perm_b32 v220, v37, v35, s53                             // 00000000658C: D1ED00DC 00D64725
	v_perm_b32 v221, v37, v35, s52                             // 000000006594: D1ED00DD 00D24725
	v_accvgpr_write_b32 a111, v218                             // 00000000659C: D3D9406F 180001DA
	v_accvgpr_write_b32 a115, v219                             // 0000000065A4: D3D94073 180001DB
	v_accvgpr_write_b32 a119, v220                             // 0000000065AC: D3D94077 180001DC
	v_accvgpr_write_b32 a123, v221                             // 0000000065B4: D3D9407B 180001DD
	buffer_load_dword v206, v52, s[20:23], 0 offen             // 0000000065BC: E0501000 8005CE34
	buffer_load_dword v207, v52, s[20:23], 0 offen offset:64   // 0000000065C4: E0501040 8005CF34
	v_perm_b32 v34, v213, v211, s54                            // 0000000065CC: D1ED0022 00DBA7D5
	v_perm_b32 v35, v213, v211, s55                            // 0000000065D4: D1ED0023 00DFA7D5
	v_perm_b32 v36, v217, v215, s54                            // 0000000065DC: D1ED0024 00DBAFD9
	v_perm_b32 v37, v217, v215, s55                            // 0000000065E4: D1ED0025 00DFAFD9
	v_perm_b32 v218, v36, v34, s53                             // 0000000065EC: D1ED00DA 00D64524
	v_perm_b32 v219, v36, v34, s52                             // 0000000065F4: D1ED00DB 00D24524
	v_perm_b32 v220, v37, v35, s53                             // 0000000065FC: D1ED00DC 00D64725
	v_perm_b32 v221, v37, v35, s52                             // 000000006604: D1ED00DD 00D24725
	v_accvgpr_write_b32 a127, v218                             // 00000000660C: D3D9407F 180001DA
	v_accvgpr_write_b32 a131, v219                             // 000000006614: D3D94083 180001DB
	v_accvgpr_write_b32 a135, v220                             // 00000000661C: D3D94087 180001DC
	v_accvgpr_write_b32 a139, v221                             // 000000006624: D3D9408B 180001DD
	s_waitcnt lgkmcnt(0)                                       // 00000000662C: BF8CC07F
	v_max3_f32 v8, v58, v59, v8                                // 000000006630: D1D30008 0422773A
	v_max3_f32 v8, v60, v61, v8                                // 000000006638: D1D30008 04227B3C
	v_max3_f32 v8, v62, v63, v8                                // 000000006640: D1D30008 04227F3E
	v_max3_f32 v8, v64, v65, v8                                // 000000006648: D1D30008 04228340
	v_max3_f32 v8, v66, v67, v8                                // 000000006650: D1D30008 04228742
	v_max3_f32 v8, v68, v69, v8                                // 000000006658: D1D30008 04228B44
	v_max3_f32 v8, v70, v71, v8                                // 000000006660: D1D30008 04228F46
	v_max3_f32 v8, v72, v73, v8                                // 000000006668: D1D30008 04229348
	buffer_load_dword v208, v53, s[20:23], 0 offen             // 000000006670: E0501000 8005D035
	buffer_load_dword v209, v53, s[20:23], 0 offen offset:64   // 000000006678: E0501040 8005D135
	v_cmp_eq_u32_e64 s[32:33], v11, v13                        // 000000006680: D0CA0020 00021B0B
	v_max_f32_e32 v14, v8, v13                                 // 000000006688: 161C1B08
	v_sub_f32_e32 v21, v13, v14                                // 00000000668C: 042A1D0D
	v_cndmask_b32_e64 v21, v21, 0, s[32:33]                    // 000000006690: D1000015 00810115
	v_mov_b32_e32 v13, v14                                     // 000000006698: 7E1A030E
	v_mul_f32_e32 v9, s5, v14                                  // 00000000669C: 0A121C05
	v_mul_f32_e32 v21, s5, v21                                 // 0000000066A0: 0A2A2A05
	v_exp_f32_e32 v21, v21                                     // 0000000066A4: 7E2A4115
	buffer_load_dword v210, v54, s[20:23], 0 offen             // 0000000066A8: E0501000 8005D236
	buffer_load_dword v211, v54, s[20:23], 0 offen offset:64   // 0000000066B0: E0501040 8005D336
	v_fma_f32 v86, v86, s5, -v9                                // 0000000066B8: D1CB0056 84240B56
	v_fma_f32 v87, v87, s5, -v9                                // 0000000066C0: D1CB0057 84240B57
	v_fma_f32 v88, v88, s5, -v9                                // 0000000066C8: D1CB0058 84240B58
	v_fma_f32 v89, v89, s5, -v9                                // 0000000066D0: D1CB0059 84240B59
	v_exp_f32_e32 v86, v86                                     // 0000000066D8: 7EAC4156
	v_exp_f32_e32 v87, v87                                     // 0000000066DC: 7EAE4157
	v_exp_f32_e32 v88, v88                                     // 0000000066E0: 7EB04158
	v_exp_f32_e32 v89, v89                                     // 0000000066E4: 7EB24159
	buffer_load_dword v212, v55, s[20:23], 0 offen             // 0000000066E8: E0501000 8005D437
	buffer_load_dword v213, v55, s[20:23], 0 offen offset:64   // 0000000066F0: E0501040 8005D537
	v_mul_f32_e32 v16, v21, v16                                // 0000000066F8: 0A202115
	v_mov_b32_e32 v17, v86                                     // 0000000066FC: 7E220356
	v_add_f32_e32 v17, v87, v17                                // 000000006700: 02222357
	v_add_f32_e32 v17, v88, v17                                // 000000006704: 02222358
	;; [unrolled: 1-line block ×3, first 2 shown]
	v_add_f32_e32 v16, v17, v16                                // 00000000670C: 02202111
	buffer_load_dword v214, v56, s[20:23], 0 offen             // 000000006710: E0501000 8005D638
	buffer_load_dword v215, v56, s[20:23], 0 offen offset:64   // 000000006718: E0501040 8005D738
	v_cvt_pk_fp8_f32 v86, v86, v87                             // 000000006720: D2A20056 0002AF56
	v_cvt_pk_fp8_f32 v86, v88, v89 op_sel:[0,0,1]              // 000000006728: D2A24056 0002B358
	ds_write_b32 v7, v86                                       // 000000006730: D81A0000 00005607
	buffer_load_dword v216, v57, s[20:23], 0 offen             // 000000006738: E0501000 8005D839
	buffer_load_dword v217, v57, s[20:23], 0 offen offset:64   // 000000006740: E0501040 8005D939
	v_mov_b32_e32 v34, v21                                     // 000000006748: 7E440315
	v_mov_b32_e32 v35, v21                                     // 00000000674C: 7E460315
	v_pk_mul_f32 v[122:123], v[34:35], v[122:123]              // 000000006750: D3B1407A 1802F522
	v_pk_mul_f32 v[124:125], v[34:35], v[124:125]              // 000000006758: D3B1407C 1802F922
	v_pk_mul_f32 v[126:127], v[34:35], v[126:127]              // 000000006760: D3B1407E 1802FD22
	v_pk_mul_f32 v[128:129], v[34:35], v[128:129]              // 000000006768: D3B14080 18030122
	v_pk_mul_f32 v[130:131], v[34:35], v[130:131]              // 000000006770: D3B14082 18030522
	v_pk_mul_f32 v[132:133], v[34:35], v[132:133]              // 000000006778: D3B14084 18030922
	v_pk_mul_f32 v[134:135], v[34:35], v[134:135]              // 000000006780: D3B14086 18030D22
	v_pk_mul_f32 v[136:137], v[34:35], v[136:137]              // 000000006788: D3B14088 18031122
	v_pk_mul_f32 v[138:139], v[34:35], v[138:139]              // 000000006790: D3B1408A 18031522
	v_pk_mul_f32 v[140:141], v[34:35], v[140:141]              // 000000006798: D3B1408C 18031922
	v_pk_mul_f32 v[142:143], v[34:35], v[142:143]              // 0000000067A0: D3B1408E 18031D22
	v_pk_mul_f32 v[144:145], v[34:35], v[144:145]              // 0000000067A8: D3B14090 18032122
	v_pk_mul_f32 v[146:147], v[34:35], v[146:147]              // 0000000067B0: D3B14092 18032522
	v_pk_mul_f32 v[148:149], v[34:35], v[148:149]              // 0000000067B8: D3B14094 18032922
	v_pk_mul_f32 v[150:151], v[34:35], v[150:151]              // 0000000067C0: D3B14096 18032D22
	v_pk_mul_f32 v[152:153], v[34:35], v[152:153]              // 0000000067C8: D3B14098 18033122
	s_waitcnt lgkmcnt(0)                                       // 0000000067D0: BF8CC07F
	s_barrier                                                  // 0000000067D4: BF8A0000
	ds_read_b64 v[86:87], v6                                   // 0000000067D8: D8EC0000 56000006
	ds_read_b64 v[88:89], v6 offset:32                         // 0000000067E0: D8EC0020 58000006
	v_mul_u32_u24_dpp v42, v26, v10 row_newbcast:0 row_mask:0xf bank_mask:0xf// 0000000067E8: 105414FA FF01501A
	v_mul_u32_u24_dpp v43, v26, v10 row_newbcast:1 row_mask:0xf bank_mask:0xf// 0000000067F0: 105614FA FF01511A
	v_mul_u32_u24_dpp v44, v26, v10 row_newbcast:2 row_mask:0xf bank_mask:0xf// 0000000067F8: 105814FA FF01521A
	v_mul_u32_u24_dpp v45, v26, v10 row_newbcast:3 row_mask:0xf bank_mask:0xf// 000000006800: 105A14FA FF01531A
	v_mul_u32_u24_dpp v46, v26, v10 row_newbcast:4 row_mask:0xf bank_mask:0xf// 000000006808: 105C14FA FF01541A
	v_mul_u32_u24_dpp v47, v26, v10 row_newbcast:5 row_mask:0xf bank_mask:0xf// 000000006810: 105E14FA FF01551A
	v_mul_u32_u24_dpp v48, v26, v10 row_newbcast:6 row_mask:0xf bank_mask:0xf// 000000006818: 106014FA FF01561A
	v_mul_u32_u24_dpp v49, v26, v10 row_newbcast:7 row_mask:0xf bank_mask:0xf// 000000006820: 106214FA FF01571A
	v_mul_u32_u24_dpp v50, v26, v10 row_newbcast:8 row_mask:0xf bank_mask:0xf// 000000006828: 106414FA FF01581A
	v_mul_u32_u24_dpp v51, v26, v10 row_newbcast:9 row_mask:0xf bank_mask:0xf// 000000006830: 106614FA FF01591A
	v_mul_u32_u24_dpp v52, v26, v10 row_newbcast:10 row_mask:0xf bank_mask:0xf// 000000006838: 106814FA FF015A1A
	v_mul_u32_u24_dpp v53, v26, v10 row_newbcast:11 row_mask:0xf bank_mask:0xf// 000000006840: 106A14FA FF015B1A
	v_mul_u32_u24_dpp v54, v26, v10 row_newbcast:12 row_mask:0xf bank_mask:0xf// 000000006848: 106C14FA FF015C1A
	v_mul_u32_u24_dpp v55, v26, v10 row_newbcast:13 row_mask:0xf bank_mask:0xf// 000000006850: 106E14FA FF015D1A
	v_mul_u32_u24_dpp v56, v26, v10 row_newbcast:14 row_mask:0xf bank_mask:0xf// 000000006858: 107014FA FF015E1A
	v_mul_u32_u24_dpp v57, v26, v10 row_newbcast:15 row_mask:0xf bank_mask:0xf// 000000006860: 107214FA FF015F1A
	s_mov_b32 s56, m0                                          // 000000006868: BEB8007C
	s_set_gpr_idx_on s51, gpr_idx(SRC0)                        // 00000000686C: BF110133
	v_add_u32_e32 v38, v42, v3                                 // 000000006870: 684C072A
	v_add_u32_e32 v39, v43, v3                                 // 000000006874: 684E072B
	v_add_u32_e32 v40, v44, v3                                 // 000000006878: 6850072C
	v_add_u32_e32 v41, v45, v3                                 // 00000000687C: 6852072D
	s_set_gpr_idx_off                                          // 000000006880: BF9C0000
	s_mov_b32 m0, s56                                          // 000000006884: BEFC0038
	v_add_u32_e32 v42, v42, v2                                 // 000000006888: 6854052A
	v_add_u32_e32 v43, v43, v2                                 // 00000000688C: 6856052B
	v_add_u32_e32 v44, v44, v2                                 // 000000006890: 6858052C
	v_add_u32_e32 v45, v45, v2                                 // 000000006894: 685A052D
	v_add_u32_e32 v46, v46, v2                                 // 000000006898: 685C052E
	v_add_u32_e32 v47, v47, v2                                 // 00000000689C: 685E052F
	v_add_u32_e32 v48, v48, v2                                 // 0000000068A0: 68600530
	v_add_u32_e32 v49, v49, v2                                 // 0000000068A4: 68620531
	v_add_u32_e32 v50, v50, v2                                 // 0000000068A8: 68640532
	v_add_u32_e32 v51, v51, v2                                 // 0000000068AC: 68660533
	v_add_u32_e32 v52, v52, v2                                 // 0000000068B0: 68680534
	v_add_u32_e32 v53, v53, v2                                 // 0000000068B4: 686A0535
	v_add_u32_e32 v54, v54, v2                                 // 0000000068B8: 686C0536
	v_add_u32_e32 v55, v55, v2                                 // 0000000068BC: 686E0537
	v_add_u32_e32 v56, v56, v2                                 // 0000000068C0: 68700538
	v_add_u32_e32 v57, v57, v2                                 // 0000000068C4: 68720539
	s_waitcnt lgkmcnt(0)                                       // 0000000068C8: BF8CC07F
	s_waitcnt vmcnt(37)                                        // 0000000068CC: BF8C8F75
	v_mfma_f32_16x16x32_fp8_fp8 v[90:93], a[108:109], v[82:83], v[90:93]// 0000000068D0: D3F3005A 0D6AA56C
	ds_write_b32 v22, v170                                     // 0000000068D8: D81A0000 0000AA16
	ds_write_b32 v22, v171 offset:64                           // 0000000068E0: D81A0040 0000AB16
	v_mfma_f32_16x16x32_fp8_fp8 v[90:93], a[110:111], v[84:85], v[90:93]// 0000000068E8: D3F3005A 0D6AA96E
	v_mfma_f32_16x16x32_fp8_fp8 v[94:97], a[112:113], v[82:83], v[94:97]// 0000000068F0: D3F3005E 0D7AA570
	ds_write_b32 v22, v172 offset:4128                         // 0000000068F8: D81A1020 0000AC16
	ds_write_b32 v22, v173 offset:4192                         // 000000006900: D81A1060 0000AD16
	v_mfma_f32_16x16x32_fp8_fp8 v[94:97], a[114:115], v[84:85], v[94:97]// 000000006908: D3F3005E 0D7AA972
	v_mfma_f32_16x16x32_fp8_fp8 v[98:101], a[116:117], v[82:83], v[98:101]// 000000006910: D3F30062 0D8AA574
	ds_write_b32 v22, v174 offset:8256                         // 000000006918: D81A2040 0000AE16
	ds_write_b32 v22, v175 offset:8320                         // 000000006920: D81A2080 0000AF16
	v_mfma_f32_16x16x32_fp8_fp8 v[98:101], a[118:119], v[84:85], v[98:101]// 000000006928: D3F30062 0D8AA976
	v_mfma_f32_16x16x32_fp8_fp8 v[102:105], a[120:121], v[82:83], v[102:105]// 000000006930: D3F30066 0D9AA578
	ds_write_b32 v22, v176 offset:12384                        // 000000006938: D81A3060 0000B016
	ds_write_b32 v22, v177 offset:12448                        // 000000006940: D81A30A0 0000B116
	v_mfma_f32_16x16x32_fp8_fp8 v[102:105], a[122:123], v[84:85], v[102:105]// 000000006948: D3F30066 0D9AA97A
	v_mfma_f32_16x16x32_fp8_fp8 v[106:109], a[124:125], v[82:83], v[106:109]// 000000006950: D3F3006A 0DAAA57C
	ds_write_b32 v22, v178 offset:512                          // 000000006958: D81A0200 0000B216
	ds_write_b32 v22, v179 offset:576                          // 000000006960: D81A0240 0000B316
	v_mfma_f32_16x16x32_fp8_fp8 v[106:109], a[126:127], v[84:85], v[106:109]// 000000006968: D3F3006A 0DAAA97E
	v_mfma_f32_16x16x32_fp8_fp8 v[110:113], a[128:129], v[82:83], v[110:113]// 000000006970: D3F3006E 0DBAA580
	ds_write_b32 v22, v180 offset:4640                         // 000000006978: D81A1220 0000B416
	ds_write_b32 v22, v181 offset:4704                         // 000000006980: D81A1260 0000B516
	v_mfma_f32_16x16x32_fp8_fp8 v[110:113], a[130:131], v[84:85], v[110:113]// 000000006988: D3F3006E 0DBAA982
	v_mfma_f32_16x16x32_fp8_fp8 v[114:117], a[132:133], v[82:83], v[114:117]// 000000006990: D3F30072 0DCAA584
	ds_write_b32 v22, v182 offset:8768                         // 000000006998: D81A2240 0000B616
	ds_write_b32 v22, v183 offset:8832                         // 0000000069A0: D81A2280 0000B716
	v_mfma_f32_16x16x32_fp8_fp8 v[114:117], a[134:135], v[84:85], v[114:117]// 0000000069A8: D3F30072 0DCAA986
	v_mfma_f32_16x16x32_fp8_fp8 v[118:121], a[136:137], v[82:83], v[118:121]// 0000000069B0: D3F30076 0DDAA588
	ds_write_b32 v22, v184 offset:12896                        // 0000000069B8: D81A3260 0000B816
	ds_write_b32 v22, v185 offset:12960                        // 0000000069C0: D81A32A0 0000B916
	v_mfma_f32_16x16x32_fp8_fp8 v[118:121], a[138:139], v[84:85], v[118:121]// 0000000069C8: D3F30076 0DDAA98A
	ds_read_b64 a[104:105], v25 offset:16512                   // 0000000069D0: DAEC4080 68000019
	ds_read_b64 a[106:107], v25 offset:16520                   // 0000000069D8: DAEC4088 6A000019
	v_mfma_f32_16x16x32_fp8_fp8 v[122:125], a[108:109], v[86:87], v[122:125]// 0000000069E0: D3F3007A 0DEAAD6C
	v_mfma_f32_16x16x32_fp8_fp8 v[122:125], a[110:111], v[88:89], v[122:125]// 0000000069E8: D3F3007A 0DEAB16E
	s_waitcnt lgkmcnt(4)                                       // 0000000069F0: BF8CC47F
	s_barrier                                                  // 0000000069F4: BF8A0000
	v_mfma_f32_16x16x32_fp8_fp8 v[126:129], a[112:113], v[86:87], v[126:129]// 0000000069F8: D3F3007E 0DFAAD70
	ds_read_b128 a[72:75], v24                                 // 000000006A00: DBFE0000 48000018
	v_mfma_f32_16x16x32_fp8_fp8 v[126:129], a[114:115], v[88:89], v[126:129]// 000000006A08: D3F3007E 0DFAB172
	ds_read_b128 a[76:79], v24 offset:64                       // 000000006A10: DBFE0040 4C000018
	v_mfma_f32_16x16x32_fp8_fp8 v[130:133], a[116:117], v[86:87], v[130:133]// 000000006A18: D3F30082 0E0AAD74
	ds_read_b128 a[80:83], v24 offset:128                      // 000000006A20: DBFE0080 50000018
	v_mfma_f32_16x16x32_fp8_fp8 v[130:133], a[118:119], v[88:89], v[130:133]// 000000006A28: D3F30082 0E0AB176
	ds_read_b128 a[84:87], v24 offset:192                      // 000000006A30: DBFE00C0 54000018
	v_mfma_f32_16x16x32_fp8_fp8 v[134:137], a[120:121], v[86:87], v[134:137]// 000000006A38: D3F30086 0E1AAD78
	ds_read_b128 a[88:91], v24 offset:256                      // 000000006A40: DBFE0100 58000018
	v_mfma_f32_16x16x32_fp8_fp8 v[134:137], a[122:123], v[88:89], v[134:137]// 000000006A48: D3F30086 0E1AB17A
	ds_read_b128 a[92:95], v24 offset:320                      // 000000006A50: DBFE0140 5C000018
	v_mfma_f32_16x16x32_fp8_fp8 v[138:141], a[124:125], v[86:87], v[138:141]// 000000006A58: D3F3008A 0E2AAD7C
	ds_read_b128 a[96:99], v24 offset:384                      // 000000006A60: DBFE0180 60000018
	v_mfma_f32_16x16x32_fp8_fp8 v[138:141], a[126:127], v[88:89], v[138:141]// 000000006A68: D3F3008A 0E2AB17E
	ds_read_b128 a[100:103], v24 offset:448                    // 000000006A70: DBFE01C0 64000018
	v_mfma_f32_16x16x32_fp8_fp8 v[142:145], a[128:129], v[86:87], v[142:145]// 000000006A78: D3F3008E 0E3AAD80
	v_mfma_f32_16x16x32_fp8_fp8 v[142:145], a[130:131], v[88:89], v[142:145]// 000000006A80: D3F3008E 0E3AB182
	v_mfma_f32_16x16x32_fp8_fp8 v[146:149], a[132:133], v[86:87], v[146:149]// 000000006A88: D3F30092 0E4AAD84
	v_mfma_f32_16x16x32_fp8_fp8 v[146:149], a[134:135], v[88:89], v[146:149]// 000000006A90: D3F30092 0E4AB186
	v_mfma_f32_16x16x32_fp8_fp8 v[150:153], a[136:137], v[86:87], v[150:153]// 000000006A98: D3F30096 0E5AAD88
	v_mfma_f32_16x16x32_fp8_fp8 v[150:153], a[138:139], v[88:89], v[150:153]// 000000006AA0: D3F30096 0E5AB18A
	s_addk_i32 s70, 0x1                                        // 000000006AA8: B7460001
	s_cmp_lt_i32 s70, s71                                      // 000000006AAC: BF044746
	s_cbranch_scc0 label_0ADE                                  // 000000006AB0: BF84F8F1
	s_branch label_0AE1                                        // 000000006AB4: BF82F8F3

0000000000006ab8 <label_11EE>:
	s_cmp_eq_i32 s48, 0                                        // 000000006AB8: BF008030
	s_cbranch_scc1 label_1876                                  // 000000006ABC: BF850643

0000000000006ac0 <label_11F0>:
	s_and_b32 s56, s71, 1                                      // 000000006AC0: 86388147
	s_cmp_eq_i32 s56, 1                                        // 000000006AC4: BF008138
	s_cbranch_scc1 label_1513                                  // 000000006AC8: BF850320
	s_waitcnt vmcnt(0) expcnt(0) lgkmcnt(0)                    // 000000006ACC: BF8C0000
	s_barrier                                                  // 000000006AD0: BF8A0000
	v_mfma_f32_16x16x32_fp8_fp8 v[82:85], a[72:73], a[0:1], 0  // 000000006AD4: D3F30052 1A020148
	v_mfma_f32_16x16x32_fp8_fp8 v[82:85], a[74:75], a[2:3], v[82:85]// 000000006ADC: D3F30052 1D4A054A
	v_mfma_f32_16x16x32_fp8_fp8 v[82:85], a[76:77], a[4:5], v[82:85]// 000000006AE4: D3F30052 1D4A094C
	v_mfma_f32_16x16x32_fp8_fp8 v[82:85], a[78:79], a[6:7], v[82:85]// 000000006AEC: D3F30052 1D4A0D4E
	v_mfma_f32_16x16x32_fp8_fp8 v[82:85], a[80:81], a[8:9], v[82:85]// 000000006AF4: D3F30052 1D4A1150
	v_mfma_f32_16x16x32_fp8_fp8 v[82:85], a[82:83], a[10:11], v[82:85]// 000000006AFC: D3F30052 1D4A1552
	v_mfma_f32_16x16x32_fp8_fp8 v[82:85], a[84:85], a[12:13], v[82:85]// 000000006B04: D3F30052 1D4A1954
	v_mfma_f32_16x16x32_fp8_fp8 v[82:85], a[86:87], a[14:15], v[82:85]// 000000006B0C: D3F30052 1D4A1D56
	v_mfma_f32_16x16x32_fp8_fp8 v[82:85], a[88:89], a[16:17], v[82:85]// 000000006B14: D3F30052 1D4A2158
	v_mfma_f32_16x16x32_fp8_fp8 v[82:85], a[90:91], a[18:19], v[82:85]// 000000006B1C: D3F30052 1D4A255A
	v_mfma_f32_16x16x32_fp8_fp8 v[82:85], a[92:93], a[20:21], v[82:85]// 000000006B24: D3F30052 1D4A295C
	v_mfma_f32_16x16x32_fp8_fp8 v[82:85], a[94:95], a[22:23], v[82:85]// 000000006B2C: D3F30052 1D4A2D5E
	v_mfma_f32_16x16x32_fp8_fp8 v[82:85], a[96:97], a[24:25], v[82:85]// 000000006B34: D3F30052 1D4A3160
	v_mfma_f32_16x16x32_fp8_fp8 v[82:85], a[98:99], a[26:27], v[82:85]// 000000006B3C: D3F30052 1D4A3562
	v_mfma_f32_16x16x32_fp8_fp8 v[82:85], a[100:101], a[28:29], v[82:85]// 000000006B44: D3F30052 1D4A3964
	v_mfma_f32_16x16x32_fp8_fp8 v[82:85], a[102:103], a[30:31], v[82:85]// 000000006B4C: D3F30052 1D4A3D66
	v_mfma_f32_16x16x32_fp8_fp8 v[82:85], a[104:105], a[32:33], v[82:85]// 000000006B54: D3F30052 1D4A4168
	v_mfma_f32_16x16x32_fp8_fp8 v[82:85], a[106:107], a[34:35], v[82:85]// 000000006B5C: D3F30052 1D4A456A
	v_mfma_f32_16x16x32_fp8_fp8 v[86:89], a[72:73], a[36:37], 0// 000000006B64: D3F30056 1A024948
	v_mfma_f32_16x16x32_fp8_fp8 v[86:89], a[74:75], a[38:39], v[86:89]// 000000006B6C: D3F30056 1D5A4D4A
	v_mfma_f32_16x16x32_fp8_fp8 v[86:89], a[76:77], a[40:41], v[86:89]// 000000006B74: D3F30056 1D5A514C
	v_mfma_f32_16x16x32_fp8_fp8 v[86:89], a[78:79], a[42:43], v[86:89]// 000000006B7C: D3F30056 1D5A554E
	v_mfma_f32_16x16x32_fp8_fp8 v[86:89], a[80:81], a[44:45], v[86:89]// 000000006B84: D3F30056 1D5A5950
	v_mfma_f32_16x16x32_fp8_fp8 v[86:89], a[82:83], a[46:47], v[86:89]// 000000006B8C: D3F30056 1D5A5D52
	v_mfma_f32_16x16x32_fp8_fp8 v[86:89], a[84:85], a[48:49], v[86:89]// 000000006B94: D3F30056 1D5A6154
	v_mfma_f32_16x16x32_fp8_fp8 v[86:89], a[86:87], a[50:51], v[86:89]// 000000006B9C: D3F30056 1D5A6556
	v_mfma_f32_16x16x32_fp8_fp8 v[86:89], a[88:89], a[52:53], v[86:89]// 000000006BA4: D3F30056 1D5A6958
	v_mfma_f32_16x16x32_fp8_fp8 v[86:89], a[90:91], a[54:55], v[86:89]// 000000006BAC: D3F30056 1D5A6D5A
	v_mfma_f32_16x16x32_fp8_fp8 v[86:89], a[92:93], a[56:57], v[86:89]// 000000006BB4: D3F30056 1D5A715C
	v_mfma_f32_16x16x32_fp8_fp8 v[86:89], a[94:95], a[58:59], v[86:89]// 000000006BBC: D3F30056 1D5A755E
	v_mfma_f32_16x16x32_fp8_fp8 v[86:89], a[96:97], a[60:61], v[86:89]// 000000006BC4: D3F30056 1D5A7960
	v_mfma_f32_16x16x32_fp8_fp8 v[86:89], a[98:99], a[62:63], v[86:89]// 000000006BCC: D3F30056 1D5A7D62
	v_mfma_f32_16x16x32_fp8_fp8 v[86:89], a[100:101], a[64:65], v[86:89]// 000000006BD4: D3F30056 1D5A8164
	v_mfma_f32_16x16x32_fp8_fp8 v[86:89], a[102:103], a[66:67], v[86:89]// 000000006BDC: D3F30056 1D5A8566
	v_mfma_f32_16x16x32_fp8_fp8 v[86:89], a[104:105], a[68:69], v[86:89]// 000000006BE4: D3F30056 1D5A8968
	v_mfma_f32_16x16x32_fp8_fp8 v[86:89], a[106:107], a[70:71], v[86:89]// 000000006BEC: D3F30056 1D5A8D6A
	s_nop 8                                                    // 000000006BF4: BF800008
	s_cmp_le_i32 s83, s82                                      // 000000006BF8: BF055253
	s_cbranch_scc1 label_1263                                  // 000000006BFC: BF850023
	s_add_u32 s57, s82, 0                                      // 000000006C00: 80398052
	v_mov_b32_e32 v38, s57                                     // 000000006C04: 7E4C0239
	s_sub_u32 s56, s83, 63                                     // 000000006C08: 80B8BF53
	s_mul_i32 s57, s7, 16                                      // 000000006C0C: 92399007
	v_lshrrev_b32_e32 v47, 4, v0                               // 000000006C10: 205E0084
	v_mul_i32_i24_e32 v47, 4, v47                              // 000000006C14: 0C5E5E84
	v_add_u32_e32 v47, s56, v47                                // 000000006C18: 685E5E38
	v_add_u32_e32 v47, s57, v47                                // 000000006C1C: 685E5E39
	v_add_u32_e32 v48, 1, v47                                  // 000000006C20: 68605E81
	v_add_u32_e32 v49, 2, v47                                  // 000000006C24: 68625E82
	v_add_u32_e32 v50, 3, v47                                  // 000000006C28: 68645E83
	v_cmp_le_u32_e64 s[32:33], v47, v38                        // 000000006C2C: D0CB0020 00024D2F
	v_add_u32_e32 v47, 64, v47                                 // 000000006C34: 685E5EC0
	s_nop 0                                                    // 000000006C38: BF800000
	v_cndmask_b32_e64 v82, v11, v82, s[32:33]                  // 000000006C3C: D1000052 0082A50B
	v_cmp_le_u32_e64 s[32:33], v48, v38                        // 000000006C44: D0CB0020 00024D30
	v_add_u32_e32 v48, 64, v48                                 // 000000006C4C: 686060C0
	s_nop 0                                                    // 000000006C50: BF800000
	v_cndmask_b32_e64 v83, v11, v83, s[32:33]                  // 000000006C54: D1000053 0082A70B
	v_cmp_le_u32_e64 s[32:33], v49, v38                        // 000000006C5C: D0CB0020 00024D31
	v_add_u32_e32 v49, 64, v49                                 // 000000006C64: 686262C0
	s_nop 0                                                    // 000000006C68: BF800000
	v_cndmask_b32_e64 v84, v11, v84, s[32:33]                  // 000000006C6C: D1000054 0082A90B
	v_cmp_le_u32_e64 s[32:33], v50, v38                        // 000000006C74: D0CB0020 00024D32
	v_add_u32_e32 v50, 64, v50                                 // 000000006C7C: 686464C0
	s_nop 0                                                    // 000000006C80: BF800000
	v_cndmask_b32_e64 v85, v11, v85, s[32:33]                  // 000000006C84: D1000055 0082AB0B

0000000000006c8c <label_1263>:
	v_mov_b32_e32 v8, v82                                      // 000000006C8C: 7E100352
	v_max3_f32 v8, v82, v83, v8                                // 000000006C90: D1D30008 0422A752
	v_max3_f32 v8, v84, v85, v8                                // 000000006C98: D1D30008 0422AB54
	ds_write_b32 v5, v8 offset:21120                           // 000000006CA0: D81A5280 00000805
	v_perm_b32 v34, v156, v154, s54                            // 000000006CA8: D1ED0022 00DB359C
	v_perm_b32 v35, v156, v154, s55                            // 000000006CB0: D1ED0023 00DF359C
	v_perm_b32 v36, v160, v158, s54                            // 000000006CB8: D1ED0024 00DB3DA0
	v_perm_b32 v37, v160, v158, s55                            // 000000006CC0: D1ED0025 00DF3DA0
	v_perm_b32 v218, v36, v34, s53                             // 000000006CC8: D1ED00DA 00D64524
	v_perm_b32 v219, v36, v34, s52                             // 000000006CD0: D1ED00DB 00D24524
	v_perm_b32 v220, v37, v35, s53                             // 000000006CD8: D1ED00DC 00D64725
	v_perm_b32 v221, v37, v35, s52                             // 000000006CE0: D1ED00DD 00D24725
	v_accvgpr_write_b32 a108, v218                             // 000000006CE8: D3D9406C 180001DA
	v_accvgpr_write_b32 a112, v219                             // 000000006CF0: D3D94070 180001DB
	v_accvgpr_write_b32 a116, v220                             // 000000006CF8: D3D94074 180001DC
	v_accvgpr_write_b32 a120, v221                             // 000000006D00: D3D94078 180001DD
	v_perm_b32 v34, v157, v155, s54                            // 000000006D08: D1ED0022 00DB379D
	v_perm_b32 v35, v157, v155, s55                            // 000000006D10: D1ED0023 00DF379D
	v_perm_b32 v36, v161, v159, s54                            // 000000006D18: D1ED0024 00DB3FA1
	v_perm_b32 v37, v161, v159, s55                            // 000000006D20: D1ED0025 00DF3FA1
	v_perm_b32 v218, v36, v34, s53                             // 000000006D28: D1ED00DA 00D64524
	v_perm_b32 v219, v36, v34, s52                             // 000000006D30: D1ED00DB 00D24524
	v_perm_b32 v220, v37, v35, s53                             // 000000006D38: D1ED00DC 00D64725
	v_perm_b32 v221, v37, v35, s52                             // 000000006D40: D1ED00DD 00D24725
	v_accvgpr_write_b32 a124, v218                             // 000000006D48: D3D9407C 180001DA
	v_accvgpr_write_b32 a128, v219                             // 000000006D50: D3D94080 180001DB
	v_accvgpr_write_b32 a132, v220                             // 000000006D58: D3D94084 180001DC
	v_accvgpr_write_b32 a136, v221                             // 000000006D60: D3D94088 180001DD
	s_waitcnt lgkmcnt(0)                                       // 000000006D68: BF8CC07F
	s_barrier                                                  // 000000006D6C: BF8A0000
	v_perm_b32 v34, v164, v162, s54                            // 000000006D70: D1ED0022 00DB45A4
	v_perm_b32 v35, v164, v162, s55                            // 000000006D78: D1ED0023 00DF45A4
	v_perm_b32 v36, v168, v166, s54                            // 000000006D80: D1ED0024 00DB4DA8
	v_perm_b32 v37, v168, v166, s55                            // 000000006D88: D1ED0025 00DF4DA8
	v_perm_b32 v218, v36, v34, s53                             // 000000006D90: D1ED00DA 00D64524
	v_perm_b32 v219, v36, v34, s52                             // 000000006D98: D1ED00DB 00D24524
	v_perm_b32 v220, v37, v35, s53                             // 000000006DA0: D1ED00DC 00D64725
	v_perm_b32 v221, v37, v35, s52                             // 000000006DA8: D1ED00DD 00D24725
	v_accvgpr_write_b32 a109, v218                             // 000000006DB0: D3D9406D 180001DA
	v_accvgpr_write_b32 a113, v219                             // 000000006DB8: D3D94071 180001DB
	v_accvgpr_write_b32 a117, v220                             // 000000006DC0: D3D94075 180001DC
	v_accvgpr_write_b32 a121, v221                             // 000000006DC8: D3D94079 180001DD
	ds_read_b32 v58, v4 offset:21120                           // 000000006DD0: D86C5280 3A000004
	ds_read_b32 v59, v4 offset:21184                           // 000000006DD8: D86C52C0 3B000004
	ds_read_b32 v60, v4 offset:21248                           // 000000006DE0: D86C5300 3C000004
	ds_read_b32 v61, v4 offset:21312                           // 000000006DE8: D86C5340 3D000004
	ds_read_b32 v62, v4 offset:21376                           // 000000006DF0: D86C5380 3E000004
	ds_read_b32 v63, v4 offset:21440                           // 000000006DF8: D86C53C0 3F000004
	ds_read_b32 v64, v4 offset:21504                           // 000000006E00: D86C5400 40000004
	ds_read_b32 v65, v4 offset:21568                           // 000000006E08: D86C5440 41000004
	ds_read_b32 v66, v4 offset:21632                           // 000000006E10: D86C5480 42000004
	ds_read_b32 v67, v4 offset:21696                           // 000000006E18: D86C54C0 43000004
	ds_read_b32 v68, v4 offset:21760                           // 000000006E20: D86C5500 44000004
	ds_read_b32 v69, v4 offset:21824                           // 000000006E28: D86C5540 45000004
	ds_read_b32 v70, v4 offset:21888                           // 000000006E30: D86C5580 46000004
	ds_read_b32 v71, v4 offset:21952                           // 000000006E38: D86C55C0 47000004
	ds_read_b32 v72, v4 offset:22016                           // 000000006E40: D86C5600 48000004
	ds_read_b32 v73, v4 offset:22080                           // 000000006E48: D86C5640 49000004
	v_perm_b32 v34, v165, v163, s54                            // 000000006E50: D1ED0022 00DB47A5
	v_perm_b32 v35, v165, v163, s55                            // 000000006E58: D1ED0023 00DF47A5
	v_perm_b32 v36, v169, v167, s54                            // 000000006E60: D1ED0024 00DB4FA9
	v_perm_b32 v37, v169, v167, s55                            // 000000006E68: D1ED0025 00DF4FA9
	v_perm_b32 v218, v36, v34, s53                             // 000000006E70: D1ED00DA 00D64524
	v_perm_b32 v219, v36, v34, s52                             // 000000006E78: D1ED00DB 00D24524
	v_perm_b32 v220, v37, v35, s53                             // 000000006E80: D1ED00DC 00D64725
	v_perm_b32 v221, v37, v35, s52                             // 000000006E88: D1ED00DD 00D24725
	v_accvgpr_write_b32 a125, v218                             // 000000006E90: D3D9407D 180001DA
	v_accvgpr_write_b32 a129, v219                             // 000000006E98: D3D94081 180001DB
	v_accvgpr_write_b32 a133, v220                             // 000000006EA0: D3D94085 180001DC
	v_accvgpr_write_b32 a137, v221                             // 000000006EA8: D3D94089 180001DD
	s_waitcnt lgkmcnt(0)                                       // 000000006EB0: BF8CC07F
	v_max3_f32 v8, v58, v59, v8                                // 000000006EB4: D1D30008 0422773A
	v_max3_f32 v8, v60, v61, v8                                // 000000006EBC: D1D30008 04227B3C
	v_max3_f32 v8, v62, v63, v8                                // 000000006EC4: D1D30008 04227F3E
	v_max3_f32 v8, v64, v65, v8                                // 000000006ECC: D1D30008 04228340
	v_max3_f32 v8, v66, v67, v8                                // 000000006ED4: D1D30008 04228742
	v_max3_f32 v8, v68, v69, v8                                // 000000006EDC: D1D30008 04228B44
	v_max3_f32 v8, v70, v71, v8                                // 000000006EE4: D1D30008 04228F46
	v_max3_f32 v8, v72, v73, v8                                // 000000006EEC: D1D30008 04229348
	v_cmp_eq_u32_e64 s[32:33], v11, v12                        // 000000006EF4: D0CA0020 0002190B
	v_max_f32_e32 v14, v8, v12                                 // 000000006EFC: 161C1908
	v_sub_f32_e32 v20, v12, v14                                // 000000006F00: 04281D0C
	v_cndmask_b32_e64 v20, v20, 0, s[32:33]                    // 000000006F04: D1000014 00810114
	v_mov_b32_e32 v12, v14                                     // 000000006F0C: 7E18030E
	v_mul_f32_e32 v9, s5, v14                                  // 000000006F10: 0A121C05
	v_mul_f32_e32 v20, s5, v20                                 // 000000006F14: 0A282805
	v_exp_f32_e32 v20, v20                                     // 000000006F18: 7E284114
	s_and_b32 s56, s48, 0xff                                   // 000000006F1C: 8638FF30 000000FF
	v_mov_b32_e32 v46, s56                                     // 000000006F24: 7E5C0238
	v_lshrrev_b32_e32 v47, 4, v0                               // 000000006F28: 205E0084
	v_mul_i32_i24_e32 v47, 4, v47                              // 000000006F2C: 0C5E5E84
	s_mul_i32 s56, s7, 16                                      // 000000006F30: 92389007
	v_add_u32_e32 v47, s56, v47                                // 000000006F34: 685E5E38
	v_add_u32_e32 v48, 1, v47                                  // 000000006F38: 68605E81
	v_add_u32_e32 v49, 2, v47                                  // 000000006F3C: 68625E82
	v_add_u32_e32 v50, 3, v47                                  // 000000006F40: 68645E83
	v_cmp_lt_u32_e64 s[32:33], v47, v46                        // 000000006F44: D0C90020 00025D2F
	v_add_u32_e32 v47, 64, v47                                 // 000000006F4C: 685E5EC0
	s_nop 0                                                    // 000000006F50: BF800000
	v_cndmask_b32_e64 v82, v11, v82, s[32:33]                  // 000000006F54: D1000052 0082A50B
	v_cmp_lt_u32_e64 s[32:33], v48, v46                        // 000000006F5C: D0C90020 00025D30
	v_add_u32_e32 v48, 64, v48                                 // 000000006F64: 686060C0
	s_nop 0                                                    // 000000006F68: BF800000
	v_cndmask_b32_e64 v83, v11, v83, s[32:33]                  // 000000006F6C: D1000053 0082A70B
	v_cmp_lt_u32_e64 s[32:33], v49, v46                        // 000000006F74: D0C90020 00025D31
	v_add_u32_e32 v49, 64, v49                                 // 000000006F7C: 686262C0
	s_nop 0                                                    // 000000006F80: BF800000
	v_cndmask_b32_e64 v84, v11, v84, s[32:33]                  // 000000006F84: D1000054 0082A90B
	v_cmp_lt_u32_e64 s[32:33], v50, v46                        // 000000006F8C: D0C90020 00025D32
	v_add_u32_e32 v50, 64, v50                                 // 000000006F94: 686464C0
	s_nop 0                                                    // 000000006F98: BF800000
	v_cndmask_b32_e64 v85, v11, v85, s[32:33]                  // 000000006F9C: D1000055 0082AB0B
	v_fma_f32 v82, v82, s5, -v9                                // 000000006FA4: D1CB0052 84240B52
	v_fma_f32 v83, v83, s5, -v9                                // 000000006FAC: D1CB0053 84240B53
	v_fma_f32 v84, v84, s5, -v9                                // 000000006FB4: D1CB0054 84240B54
	v_fma_f32 v85, v85, s5, -v9                                // 000000006FBC: D1CB0055 84240B55
	v_exp_f32_e32 v82, v82                                     // 000000006FC4: 7EA44152
	v_exp_f32_e32 v83, v83                                     // 000000006FC8: 7EA64153
	v_exp_f32_e32 v84, v84                                     // 000000006FCC: 7EA84154
	v_exp_f32_e32 v85, v85                                     // 000000006FD0: 7EAA4155
	v_mul_f32_e32 v15, v20, v15                                // 000000006FD4: 0A1E1F14
	v_mov_b32_e32 v17, v82                                     // 000000006FD8: 7E220352
	v_add_f32_e32 v17, v83, v17                                // 000000006FDC: 02222353
	v_add_f32_e32 v17, v84, v17                                // 000000006FE0: 02222354
	v_add_f32_e32 v17, v85, v17                                // 000000006FE4: 02222355
	v_add_f32_e32 v15, v17, v15                                // 000000006FE8: 021E1F11
	v_cvt_pk_fp8_f32 v82, v82, v83                             // 000000006FEC: D2A20052 0002A752
	v_cvt_pk_fp8_f32 v82, v84, v85 op_sel:[0,0,1]              // 000000006FF4: D2A24052 0002AB54
	ds_write_b32 v7, v82                                       // 000000006FFC: D81A0000 00005207
	s_waitcnt lgkmcnt(0)                                       // 000000007004: BF8CC07F
	s_barrier                                                  // 000000007008: BF8A0000
	ds_read_b64 v[82:83], v6                                   // 00000000700C: D8EC0000 52000006
	ds_read_b64 v[84:85], v6 offset:32                         // 000000007014: D8EC0020 54000006
	v_mov_b32_e32 v34, v20                                     // 00000000701C: 7E440314
	v_mov_b32_e32 v35, v20                                     // 000000007020: 7E460314
	v_pk_mul_f32 v[90:91], v[34:35], v[90:91]                  // 000000007024: D3B1405A 1802B522
	v_pk_mul_f32 v[92:93], v[34:35], v[92:93]                  // 00000000702C: D3B1405C 1802B922
	v_pk_mul_f32 v[94:95], v[34:35], v[94:95]                  // 000000007034: D3B1405E 1802BD22
	v_pk_mul_f32 v[96:97], v[34:35], v[96:97]                  // 00000000703C: D3B14060 1802C122
	v_pk_mul_f32 v[98:99], v[34:35], v[98:99]                  // 000000007044: D3B14062 1802C522
	v_pk_mul_f32 v[100:101], v[34:35], v[100:101]              // 00000000704C: D3B14064 1802C922
	v_pk_mul_f32 v[102:103], v[34:35], v[102:103]              // 000000007054: D3B14066 1802CD22
	v_pk_mul_f32 v[104:105], v[34:35], v[104:105]              // 00000000705C: D3B14068 1802D122
	v_pk_mul_f32 v[106:107], v[34:35], v[106:107]              // 000000007064: D3B1406A 1802D522
	v_pk_mul_f32 v[108:109], v[34:35], v[108:109]              // 00000000706C: D3B1406C 1802D922
	v_pk_mul_f32 v[110:111], v[34:35], v[110:111]              // 000000007074: D3B1406E 1802DD22
	v_pk_mul_f32 v[112:113], v[34:35], v[112:113]              // 00000000707C: D3B14070 1802E122
	v_pk_mul_f32 v[114:115], v[34:35], v[114:115]              // 000000007084: D3B14072 1802E522
	v_pk_mul_f32 v[116:117], v[34:35], v[116:117]              // 00000000708C: D3B14074 1802E922
	v_pk_mul_f32 v[118:119], v[34:35], v[118:119]              // 000000007094: D3B14076 1802ED22
	v_pk_mul_f32 v[120:121], v[34:35], v[120:121]              // 00000000709C: D3B14078 1802F122
	s_waitcnt lgkmcnt(0)                                       // 0000000070A4: BF8CC07F
	s_cmp_le_i32 s83, s82                                      // 0000000070A8: BF055253
	s_cbranch_scc1 label_138F                                  // 0000000070AC: BF850023
	s_add_u32 s57, s82, 1                                      // 0000000070B0: 80398152
	v_mov_b32_e32 v38, s57                                     // 0000000070B4: 7E4C0239
	s_sub_u32 s56, s83, 63                                     // 0000000070B8: 80B8BF53
	s_mul_i32 s57, s7, 16                                      // 0000000070BC: 92399007
	v_lshrrev_b32_e32 v47, 4, v0                               // 0000000070C0: 205E0084
	v_mul_i32_i24_e32 v47, 4, v47                              // 0000000070C4: 0C5E5E84
	v_add_u32_e32 v47, s56, v47                                // 0000000070C8: 685E5E38
	v_add_u32_e32 v47, s57, v47                                // 0000000070CC: 685E5E39
	v_add_u32_e32 v48, 1, v47                                  // 0000000070D0: 68605E81
	v_add_u32_e32 v49, 2, v47                                  // 0000000070D4: 68625E82
	v_add_u32_e32 v50, 3, v47                                  // 0000000070D8: 68645E83
	v_cmp_le_u32_e64 s[32:33], v47, v38                        // 0000000070DC: D0CB0020 00024D2F
	v_add_u32_e32 v47, 64, v47                                 // 0000000070E4: 685E5EC0
	s_nop 0                                                    // 0000000070E8: BF800000
	v_cndmask_b32_e64 v86, v11, v86, s[32:33]                  // 0000000070EC: D1000056 0082AD0B
	v_cmp_le_u32_e64 s[32:33], v48, v38                        // 0000000070F4: D0CB0020 00024D30
	v_add_u32_e32 v48, 64, v48                                 // 0000000070FC: 686060C0
	s_nop 0                                                    // 000000007100: BF800000
	v_cndmask_b32_e64 v87, v11, v87, s[32:33]                  // 000000007104: D1000057 0082AF0B
	v_cmp_le_u32_e64 s[32:33], v49, v38                        // 00000000710C: D0CB0020 00024D31
	v_add_u32_e32 v49, 64, v49                                 // 000000007114: 686262C0
	s_nop 0                                                    // 000000007118: BF800000
	v_cndmask_b32_e64 v88, v11, v88, s[32:33]                  // 00000000711C: D1000058 0082B10B
	v_cmp_le_u32_e64 s[32:33], v50, v38                        // 000000007124: D0CB0020 00024D32
	v_add_u32_e32 v50, 64, v50                                 // 00000000712C: 686464C0
	s_nop 0                                                    // 000000007130: BF800000
	v_cndmask_b32_e64 v89, v11, v89, s[32:33]                  // 000000007134: D1000059 0082B30B

000000000000713c <label_138F>:
	s_add_u32 s83, s84, s83                                    // 00000000713C: 80535354
	v_mov_b32_e32 v8, v86                                      // 000000007140: 7E100356
	v_max3_f32 v8, v86, v87, v8                                // 000000007144: D1D30008 0422AF56
	v_max3_f32 v8, v88, v89, v8                                // 00000000714C: D1D30008 0422B358
	ds_write_b32 v5, v8 offset:21120                           // 000000007154: D81A5280 00000805
	v_perm_b32 v34, v172, v170, s54                            // 00000000715C: D1ED0022 00DB55AC
	v_perm_b32 v35, v172, v170, s55                            // 000000007164: D1ED0023 00DF55AC
	v_perm_b32 v36, v176, v174, s54                            // 00000000716C: D1ED0024 00DB5DB0
	v_perm_b32 v37, v176, v174, s55                            // 000000007174: D1ED0025 00DF5DB0
	v_perm_b32 v218, v36, v34, s53                             // 00000000717C: D1ED00DA 00D64524
	v_perm_b32 v219, v36, v34, s52                             // 000000007184: D1ED00DB 00D24524
	v_perm_b32 v220, v37, v35, s53                             // 00000000718C: D1ED00DC 00D64725
	v_perm_b32 v221, v37, v35, s52                             // 000000007194: D1ED00DD 00D24725
	v_accvgpr_write_b32 a110, v218                             // 00000000719C: D3D9406E 180001DA
	v_accvgpr_write_b32 a114, v219                             // 0000000071A4: D3D94072 180001DB
	v_accvgpr_write_b32 a118, v220                             // 0000000071AC: D3D94076 180001DC
	v_accvgpr_write_b32 a122, v221                             // 0000000071B4: D3D9407A 180001DD
	v_perm_b32 v34, v173, v171, s54                            // 0000000071BC: D1ED0022 00DB57AD
	v_perm_b32 v35, v173, v171, s55                            // 0000000071C4: D1ED0023 00DF57AD
	v_perm_b32 v36, v177, v175, s54                            // 0000000071CC: D1ED0024 00DB5FB1
	v_perm_b32 v37, v177, v175, s55                            // 0000000071D4: D1ED0025 00DF5FB1
	v_perm_b32 v218, v36, v34, s53                             // 0000000071DC: D1ED00DA 00D64524
	v_perm_b32 v219, v36, v34, s52                             // 0000000071E4: D1ED00DB 00D24524
	v_perm_b32 v220, v37, v35, s53                             // 0000000071EC: D1ED00DC 00D64725
	v_perm_b32 v221, v37, v35, s52                             // 0000000071F4: D1ED00DD 00D24725
	v_accvgpr_write_b32 a126, v218                             // 0000000071FC: D3D9407E 180001DA
	v_accvgpr_write_b32 a130, v219                             // 000000007204: D3D94082 180001DB
	v_accvgpr_write_b32 a134, v220                             // 00000000720C: D3D94086 180001DC
	v_accvgpr_write_b32 a138, v221                             // 000000007214: D3D9408A 180001DD
	s_waitcnt lgkmcnt(0)                                       // 00000000721C: BF8CC07F
	s_barrier                                                  // 000000007220: BF8A0000
	v_perm_b32 v34, v180, v178, s54                            // 000000007224: D1ED0022 00DB65B4
	v_perm_b32 v35, v180, v178, s55                            // 00000000722C: D1ED0023 00DF65B4
	v_perm_b32 v36, v184, v182, s54                            // 000000007234: D1ED0024 00DB6DB8
	v_perm_b32 v37, v184, v182, s55                            // 00000000723C: D1ED0025 00DF6DB8
	v_perm_b32 v218, v36, v34, s53                             // 000000007244: D1ED00DA 00D64524
	v_perm_b32 v219, v36, v34, s52                             // 00000000724C: D1ED00DB 00D24524
	v_perm_b32 v220, v37, v35, s53                             // 000000007254: D1ED00DC 00D64725
	v_perm_b32 v221, v37, v35, s52                             // 00000000725C: D1ED00DD 00D24725
	v_accvgpr_write_b32 a111, v218                             // 000000007264: D3D9406F 180001DA
	v_accvgpr_write_b32 a115, v219                             // 00000000726C: D3D94073 180001DB
	v_accvgpr_write_b32 a119, v220                             // 000000007274: D3D94077 180001DC
	v_accvgpr_write_b32 a123, v221                             // 00000000727C: D3D9407B 180001DD
	ds_read_b32 v58, v4 offset:21120                           // 000000007284: D86C5280 3A000004
	ds_read_b32 v59, v4 offset:21184                           // 00000000728C: D86C52C0 3B000004
	ds_read_b32 v60, v4 offset:21248                           // 000000007294: D86C5300 3C000004
	ds_read_b32 v61, v4 offset:21312                           // 00000000729C: D86C5340 3D000004
	ds_read_b32 v62, v4 offset:21376                           // 0000000072A4: D86C5380 3E000004
	ds_read_b32 v63, v4 offset:21440                           // 0000000072AC: D86C53C0 3F000004
	ds_read_b32 v64, v4 offset:21504                           // 0000000072B4: D86C5400 40000004
	ds_read_b32 v65, v4 offset:21568                           // 0000000072BC: D86C5440 41000004
	ds_read_b32 v66, v4 offset:21632                           // 0000000072C4: D86C5480 42000004
	ds_read_b32 v67, v4 offset:21696                           // 0000000072CC: D86C54C0 43000004
	ds_read_b32 v68, v4 offset:21760                           // 0000000072D4: D86C5500 44000004
	ds_read_b32 v69, v4 offset:21824                           // 0000000072DC: D86C5540 45000004
	ds_read_b32 v70, v4 offset:21888                           // 0000000072E4: D86C5580 46000004
	ds_read_b32 v71, v4 offset:21952                           // 0000000072EC: D86C55C0 47000004
	ds_read_b32 v72, v4 offset:22016                           // 0000000072F4: D86C5600 48000004
	ds_read_b32 v73, v4 offset:22080                           // 0000000072FC: D86C5640 49000004
	v_perm_b32 v34, v181, v179, s54                            // 000000007304: D1ED0022 00DB67B5
	v_perm_b32 v35, v181, v179, s55                            // 00000000730C: D1ED0023 00DF67B5
	v_perm_b32 v36, v185, v183, s54                            // 000000007314: D1ED0024 00DB6FB9
	v_perm_b32 v37, v185, v183, s55                            // 00000000731C: D1ED0025 00DF6FB9
	v_perm_b32 v218, v36, v34, s53                             // 000000007324: D1ED00DA 00D64524
	v_perm_b32 v219, v36, v34, s52                             // 00000000732C: D1ED00DB 00D24524
	v_perm_b32 v220, v37, v35, s53                             // 000000007334: D1ED00DC 00D64725
	v_perm_b32 v221, v37, v35, s52                             // 00000000733C: D1ED00DD 00D24725
	v_accvgpr_write_b32 a127, v218                             // 000000007344: D3D9407F 180001DA
	v_accvgpr_write_b32 a131, v219                             // 00000000734C: D3D94083 180001DB
	v_accvgpr_write_b32 a135, v220                             // 000000007354: D3D94087 180001DC
	v_accvgpr_write_b32 a139, v221                             // 00000000735C: D3D9408B 180001DD
	s_waitcnt lgkmcnt(0)                                       // 000000007364: BF8CC07F
	v_max3_f32 v8, v58, v59, v8                                // 000000007368: D1D30008 0422773A
	v_max3_f32 v8, v60, v61, v8                                // 000000007370: D1D30008 04227B3C
	v_max3_f32 v8, v62, v63, v8                                // 000000007378: D1D30008 04227F3E
	v_max3_f32 v8, v64, v65, v8                                // 000000007380: D1D30008 04228340
	v_max3_f32 v8, v66, v67, v8                                // 000000007388: D1D30008 04228742
	v_max3_f32 v8, v68, v69, v8                                // 000000007390: D1D30008 04228B44
	v_max3_f32 v8, v70, v71, v8                                // 000000007398: D1D30008 04228F46
	v_max3_f32 v8, v72, v73, v8                                // 0000000073A0: D1D30008 04229348
	v_cmp_eq_u32_e64 s[32:33], v11, v13                        // 0000000073A8: D0CA0020 00021B0B
	v_max_f32_e32 v14, v8, v13                                 // 0000000073B0: 161C1B08
	v_sub_f32_e32 v21, v13, v14                                // 0000000073B4: 042A1D0D
	v_cndmask_b32_e64 v21, v21, 0, s[32:33]                    // 0000000073B8: D1000015 00810115
	v_mov_b32_e32 v13, v14                                     // 0000000073C0: 7E1A030E
	v_mul_f32_e32 v9, s5, v14                                  // 0000000073C4: 0A121C05
	v_mul_f32_e32 v21, s5, v21                                 // 0000000073C8: 0A2A2A05
	v_exp_f32_e32 v21, v21                                     // 0000000073CC: 7E2A4115
	s_and_b32 s56, s48, 0xff                                   // 0000000073D0: 8638FF30 000000FF
	v_mov_b32_e32 v46, s56                                     // 0000000073D8: 7E5C0238
	v_lshrrev_b32_e32 v47, 4, v0                               // 0000000073DC: 205E0084
	v_mul_i32_i24_e32 v47, 4, v47                              // 0000000073E0: 0C5E5E84
	s_mul_i32 s56, s7, 16                                      // 0000000073E4: 92389007
	v_add_u32_e32 v47, s56, v47                                // 0000000073E8: 685E5E38
	v_add_u32_e32 v48, 1, v47                                  // 0000000073EC: 68605E81
	v_add_u32_e32 v49, 2, v47                                  // 0000000073F0: 68625E82
	v_add_u32_e32 v50, 3, v47                                  // 0000000073F4: 68645E83
	v_cmp_lt_u32_e64 s[32:33], v47, v46                        // 0000000073F8: D0C90020 00025D2F
	v_add_u32_e32 v47, 64, v47                                 // 000000007400: 685E5EC0
	s_nop 0                                                    // 000000007404: BF800000
	v_cndmask_b32_e64 v86, v11, v86, s[32:33]                  // 000000007408: D1000056 0082AD0B
	v_cmp_lt_u32_e64 s[32:33], v48, v46                        // 000000007410: D0C90020 00025D30
	v_add_u32_e32 v48, 64, v48                                 // 000000007418: 686060C0
	s_nop 0                                                    // 00000000741C: BF800000
	v_cndmask_b32_e64 v87, v11, v87, s[32:33]                  // 000000007420: D1000057 0082AF0B
	v_cmp_lt_u32_e64 s[32:33], v49, v46                        // 000000007428: D0C90020 00025D31
	v_add_u32_e32 v49, 64, v49                                 // 000000007430: 686262C0
	s_nop 0                                                    // 000000007434: BF800000
	v_cndmask_b32_e64 v88, v11, v88, s[32:33]                  // 000000007438: D1000058 0082B10B
	v_cmp_lt_u32_e64 s[32:33], v50, v46                        // 000000007440: D0C90020 00025D32
	v_add_u32_e32 v50, 64, v50                                 // 000000007448: 686464C0
	s_nop 0                                                    // 00000000744C: BF800000
	v_cndmask_b32_e64 v89, v11, v89, s[32:33]                  // 000000007450: D1000059 0082B30B
	v_fma_f32 v86, v86, s5, -v9                                // 000000007458: D1CB0056 84240B56
	v_fma_f32 v87, v87, s5, -v9                                // 000000007460: D1CB0057 84240B57
	v_fma_f32 v88, v88, s5, -v9                                // 000000007468: D1CB0058 84240B58
	v_fma_f32 v89, v89, s5, -v9                                // 000000007470: D1CB0059 84240B59
	v_exp_f32_e32 v86, v86                                     // 000000007478: 7EAC4156
	v_exp_f32_e32 v87, v87                                     // 00000000747C: 7EAE4157
	v_exp_f32_e32 v88, v88                                     // 000000007480: 7EB04158
	v_exp_f32_e32 v89, v89                                     // 000000007484: 7EB24159
	v_mul_f32_e32 v16, v21, v16                                // 000000007488: 0A202115
	v_mov_b32_e32 v17, v86                                     // 00000000748C: 7E220356
	v_add_f32_e32 v17, v87, v17                                // 000000007490: 02222357
	v_add_f32_e32 v17, v88, v17                                // 000000007494: 02222358
	;; [unrolled: 1-line block ×3, first 2 shown]
	v_add_f32_e32 v16, v17, v16                                // 00000000749C: 02202111
	v_cvt_pk_fp8_f32 v86, v86, v87                             // 0000000074A0: D2A20056 0002AF56
	v_cvt_pk_fp8_f32 v86, v88, v89 op_sel:[0,0,1]              // 0000000074A8: D2A24056 0002B358
	ds_write_b32 v7, v86                                       // 0000000074B0: D81A0000 00005607
	v_mov_b32_e32 v34, v21                                     // 0000000074B8: 7E440315
	v_mov_b32_e32 v35, v21                                     // 0000000074BC: 7E460315
	v_pk_mul_f32 v[122:123], v[34:35], v[122:123]              // 0000000074C0: D3B1407A 1802F522
	v_pk_mul_f32 v[124:125], v[34:35], v[124:125]              // 0000000074C8: D3B1407C 1802F922
	v_pk_mul_f32 v[126:127], v[34:35], v[126:127]              // 0000000074D0: D3B1407E 1802FD22
	v_pk_mul_f32 v[128:129], v[34:35], v[128:129]              // 0000000074D8: D3B14080 18030122
	v_pk_mul_f32 v[130:131], v[34:35], v[130:131]              // 0000000074E0: D3B14082 18030522
	v_pk_mul_f32 v[132:133], v[34:35], v[132:133]              // 0000000074E8: D3B14084 18030922
	v_pk_mul_f32 v[134:135], v[34:35], v[134:135]              // 0000000074F0: D3B14086 18030D22
	v_pk_mul_f32 v[136:137], v[34:35], v[136:137]              // 0000000074F8: D3B14088 18031122
	v_pk_mul_f32 v[138:139], v[34:35], v[138:139]              // 000000007500: D3B1408A 18031522
	v_pk_mul_f32 v[140:141], v[34:35], v[140:141]              // 000000007508: D3B1408C 18031922
	v_pk_mul_f32 v[142:143], v[34:35], v[142:143]              // 000000007510: D3B1408E 18031D22
	v_pk_mul_f32 v[144:145], v[34:35], v[144:145]              // 000000007518: D3B14090 18032122
	v_pk_mul_f32 v[146:147], v[34:35], v[146:147]              // 000000007520: D3B14092 18032522
	v_pk_mul_f32 v[148:149], v[34:35], v[148:149]              // 000000007528: D3B14094 18032922
	v_pk_mul_f32 v[150:151], v[34:35], v[150:151]              // 000000007530: D3B14096 18032D22
	v_pk_mul_f32 v[152:153], v[34:35], v[152:153]              // 000000007538: D3B14098 18033122
	s_waitcnt lgkmcnt(0)                                       // 000000007540: BF8CC07F
	s_barrier                                                  // 000000007544: BF8A0000
	ds_read_b64 v[86:87], v6                                   // 000000007548: D8EC0000 56000006
	ds_read_b64 v[88:89], v6 offset:32                         // 000000007550: D8EC0020 58000006
	v_mul_u32_u24_dpp v42, v27, v10 row_newbcast:0 row_mask:0xf bank_mask:0xf// 000000007558: 105414FA FF01501B
	v_mul_u32_u24_dpp v43, v27, v10 row_newbcast:1 row_mask:0xf bank_mask:0xf// 000000007560: 105614FA FF01511B
	v_mul_u32_u24_dpp v44, v27, v10 row_newbcast:2 row_mask:0xf bank_mask:0xf// 000000007568: 105814FA FF01521B
	v_mul_u32_u24_dpp v45, v27, v10 row_newbcast:3 row_mask:0xf bank_mask:0xf// 000000007570: 105A14FA FF01531B
	v_mul_u32_u24_dpp v46, v27, v10 row_newbcast:4 row_mask:0xf bank_mask:0xf// 000000007578: 105C14FA FF01541B
	v_mul_u32_u24_dpp v47, v27, v10 row_newbcast:5 row_mask:0xf bank_mask:0xf// 000000007580: 105E14FA FF01551B
	v_mul_u32_u24_dpp v48, v27, v10 row_newbcast:6 row_mask:0xf bank_mask:0xf// 000000007588: 106014FA FF01561B
	v_mul_u32_u24_dpp v49, v27, v10 row_newbcast:7 row_mask:0xf bank_mask:0xf// 000000007590: 106214FA FF01571B
	v_mul_u32_u24_dpp v50, v27, v10 row_newbcast:8 row_mask:0xf bank_mask:0xf// 000000007598: 106414FA FF01581B
	v_mul_u32_u24_dpp v51, v27, v10 row_newbcast:9 row_mask:0xf bank_mask:0xf// 0000000075A0: 106614FA FF01591B
	v_mul_u32_u24_dpp v52, v27, v10 row_newbcast:10 row_mask:0xf bank_mask:0xf// 0000000075A8: 106814FA FF015A1B
	v_mul_u32_u24_dpp v53, v27, v10 row_newbcast:11 row_mask:0xf bank_mask:0xf// 0000000075B0: 106A14FA FF015B1B
	v_mul_u32_u24_dpp v54, v27, v10 row_newbcast:12 row_mask:0xf bank_mask:0xf// 0000000075B8: 106C14FA FF015C1B
	v_mul_u32_u24_dpp v55, v27, v10 row_newbcast:13 row_mask:0xf bank_mask:0xf// 0000000075C0: 106E14FA FF015D1B
	v_mul_u32_u24_dpp v56, v27, v10 row_newbcast:14 row_mask:0xf bank_mask:0xf// 0000000075C8: 107014FA FF015E1B
	v_mul_u32_u24_dpp v57, v27, v10 row_newbcast:15 row_mask:0xf bank_mask:0xf// 0000000075D0: 107214FA FF015F1B
	s_mov_b32 s56, m0                                          // 0000000075D8: BEB8007C
	s_set_gpr_idx_on s51, gpr_idx(SRC0)                        // 0000000075DC: BF110133
	v_add_u32_e32 v38, v42, v3                                 // 0000000075E0: 684C072A
	v_add_u32_e32 v39, v43, v3                                 // 0000000075E4: 684E072B
	v_add_u32_e32 v40, v44, v3                                 // 0000000075E8: 6850072C
	v_add_u32_e32 v41, v45, v3                                 // 0000000075EC: 6852072D
	s_set_gpr_idx_off                                          // 0000000075F0: BF9C0000
	s_mov_b32 m0, s56                                          // 0000000075F4: BEFC0038
	v_add_u32_e32 v42, v42, v2                                 // 0000000075F8: 6854052A
	v_add_u32_e32 v43, v43, v2                                 // 0000000075FC: 6856052B
	v_add_u32_e32 v44, v44, v2                                 // 000000007600: 6858052C
	v_add_u32_e32 v45, v45, v2                                 // 000000007604: 685A052D
	v_add_u32_e32 v46, v46, v2                                 // 000000007608: 685C052E
	v_add_u32_e32 v47, v47, v2                                 // 00000000760C: 685E052F
	v_add_u32_e32 v48, v48, v2                                 // 000000007610: 68600530
	v_add_u32_e32 v49, v49, v2                                 // 000000007614: 68620531
	;; [unrolled: 1-line block ×3, first 2 shown]
	v_add_u32_e32 v51, v51, v2                                 // 00000000761C: 68660533
	v_add_u32_e32 v52, v52, v2                                 // 000000007620: 68680534
	v_add_u32_e32 v53, v53, v2                                 // 000000007624: 686A0535
	v_add_u32_e32 v54, v54, v2                                 // 000000007628: 686C0536
	v_add_u32_e32 v55, v55, v2                                 // 00000000762C: 686E0537
	v_add_u32_e32 v56, v56, v2                                 // 000000007630: 68700538
	v_add_u32_e32 v57, v57, v2                                 // 000000007634: 68720539
	s_waitcnt lgkmcnt(0)                                       // 000000007638: BF8CC07F
	s_waitcnt vmcnt(0)                                         // 00000000763C: BF8C0F70
	s_barrier                                                  // 000000007640: BF8A0000
	v_mfma_f32_16x16x32_fp8_fp8 v[90:93], a[108:109], v[82:83], v[90:93]// 000000007644: D3F3005A 0D6AA56C
	v_mfma_f32_16x16x32_fp8_fp8 v[90:93], a[110:111], v[84:85], v[90:93]// 00000000764C: D3F3005A 0D6AA96E
	v_mfma_f32_16x16x32_fp8_fp8 v[94:97], a[112:113], v[82:83], v[94:97]// 000000007654: D3F3005E 0D7AA570
	v_mfma_f32_16x16x32_fp8_fp8 v[94:97], a[114:115], v[84:85], v[94:97]// 00000000765C: D3F3005E 0D7AA972
	v_mfma_f32_16x16x32_fp8_fp8 v[98:101], a[116:117], v[82:83], v[98:101]// 000000007664: D3F30062 0D8AA574
	v_mfma_f32_16x16x32_fp8_fp8 v[98:101], a[118:119], v[84:85], v[98:101]// 00000000766C: D3F30062 0D8AA976
	v_mfma_f32_16x16x32_fp8_fp8 v[102:105], a[120:121], v[82:83], v[102:105]// 000000007674: D3F30066 0D9AA578
	v_mfma_f32_16x16x32_fp8_fp8 v[102:105], a[122:123], v[84:85], v[102:105]// 00000000767C: D3F30066 0D9AA97A
	v_mfma_f32_16x16x32_fp8_fp8 v[106:109], a[124:125], v[82:83], v[106:109]// 000000007684: D3F3006A 0DAAA57C
	v_mfma_f32_16x16x32_fp8_fp8 v[106:109], a[126:127], v[84:85], v[106:109]// 00000000768C: D3F3006A 0DAAA97E
	v_mfma_f32_16x16x32_fp8_fp8 v[110:113], a[128:129], v[82:83], v[110:113]// 000000007694: D3F3006E 0DBAA580
	v_mfma_f32_16x16x32_fp8_fp8 v[110:113], a[130:131], v[84:85], v[110:113]// 00000000769C: D3F3006E 0DBAA982
	v_mfma_f32_16x16x32_fp8_fp8 v[114:117], a[132:133], v[82:83], v[114:117]// 0000000076A4: D3F30072 0DCAA584
	v_mfma_f32_16x16x32_fp8_fp8 v[114:117], a[134:135], v[84:85], v[114:117]// 0000000076AC: D3F30072 0DCAA986
	v_mfma_f32_16x16x32_fp8_fp8 v[118:121], a[136:137], v[82:83], v[118:121]// 0000000076B4: D3F30076 0DDAA588
	v_mfma_f32_16x16x32_fp8_fp8 v[118:121], a[138:139], v[84:85], v[118:121]// 0000000076BC: D3F30076 0DDAA98A
	v_mfma_f32_16x16x32_fp8_fp8 v[122:125], a[108:109], v[86:87], v[122:125]// 0000000076C4: D3F3007A 0DEAAD6C
	v_mfma_f32_16x16x32_fp8_fp8 v[122:125], a[110:111], v[88:89], v[122:125]// 0000000076CC: D3F3007A 0DEAB16E
	v_mfma_f32_16x16x32_fp8_fp8 v[126:129], a[112:113], v[86:87], v[126:129]// 0000000076D4: D3F3007E 0DFAAD70
	v_mfma_f32_16x16x32_fp8_fp8 v[126:129], a[114:115], v[88:89], v[126:129]// 0000000076DC: D3F3007E 0DFAB172
	v_mfma_f32_16x16x32_fp8_fp8 v[130:133], a[116:117], v[86:87], v[130:133]// 0000000076E4: D3F30082 0E0AAD74
	v_mfma_f32_16x16x32_fp8_fp8 v[130:133], a[118:119], v[88:89], v[130:133]// 0000000076EC: D3F30082 0E0AB176
	v_mfma_f32_16x16x32_fp8_fp8 v[134:137], a[120:121], v[86:87], v[134:137]// 0000000076F4: D3F30086 0E1AAD78
	v_mfma_f32_16x16x32_fp8_fp8 v[134:137], a[122:123], v[88:89], v[134:137]// 0000000076FC: D3F30086 0E1AB17A
	v_mfma_f32_16x16x32_fp8_fp8 v[138:141], a[124:125], v[86:87], v[138:141]// 000000007704: D3F3008A 0E2AAD7C
	v_mfma_f32_16x16x32_fp8_fp8 v[138:141], a[126:127], v[88:89], v[138:141]// 00000000770C: D3F3008A 0E2AB17E
	v_mfma_f32_16x16x32_fp8_fp8 v[142:145], a[128:129], v[86:87], v[142:145]// 000000007714: D3F3008E 0E3AAD80
	v_mfma_f32_16x16x32_fp8_fp8 v[142:145], a[130:131], v[88:89], v[142:145]// 00000000771C: D3F3008E 0E3AB182
	v_mfma_f32_16x16x32_fp8_fp8 v[146:149], a[132:133], v[86:87], v[146:149]// 000000007724: D3F30092 0E4AAD84
	v_mfma_f32_16x16x32_fp8_fp8 v[146:149], a[134:135], v[88:89], v[146:149]// 00000000772C: D3F30092 0E4AB186
	v_mfma_f32_16x16x32_fp8_fp8 v[150:153], a[136:137], v[86:87], v[150:153]// 000000007734: D3F30096 0E5AAD88
	v_mfma_f32_16x16x32_fp8_fp8 v[150:153], a[138:139], v[88:89], v[150:153]// 00000000773C: D3F30096 0E5AB18A
	s_nop 8                                                    // 000000007744: BF800008
	s_branch label_1876                                        // 000000007748: BF820320

000000000000774c <label_1513>:
	s_waitcnt vmcnt(0) expcnt(0) lgkmcnt(0)                    // 00000000774C: BF8C0000
	s_barrier                                                  // 000000007750: BF8A0000
	v_mfma_f32_16x16x32_fp8_fp8 v[82:85], a[72:73], a[0:1], 0  // 000000007754: D3F30052 1A020148
	v_mfma_f32_16x16x32_fp8_fp8 v[82:85], a[74:75], a[2:3], v[82:85]// 00000000775C: D3F30052 1D4A054A
	v_mfma_f32_16x16x32_fp8_fp8 v[82:85], a[76:77], a[4:5], v[82:85]// 000000007764: D3F30052 1D4A094C
	v_mfma_f32_16x16x32_fp8_fp8 v[82:85], a[78:79], a[6:7], v[82:85]// 00000000776C: D3F30052 1D4A0D4E
	v_mfma_f32_16x16x32_fp8_fp8 v[82:85], a[80:81], a[8:9], v[82:85]// 000000007774: D3F30052 1D4A1150
	v_mfma_f32_16x16x32_fp8_fp8 v[82:85], a[82:83], a[10:11], v[82:85]// 00000000777C: D3F30052 1D4A1552
	v_mfma_f32_16x16x32_fp8_fp8 v[82:85], a[84:85], a[12:13], v[82:85]// 000000007784: D3F30052 1D4A1954
	v_mfma_f32_16x16x32_fp8_fp8 v[82:85], a[86:87], a[14:15], v[82:85]// 00000000778C: D3F30052 1D4A1D56
	v_mfma_f32_16x16x32_fp8_fp8 v[82:85], a[88:89], a[16:17], v[82:85]// 000000007794: D3F30052 1D4A2158
	v_mfma_f32_16x16x32_fp8_fp8 v[82:85], a[90:91], a[18:19], v[82:85]// 00000000779C: D3F30052 1D4A255A
	v_mfma_f32_16x16x32_fp8_fp8 v[82:85], a[92:93], a[20:21], v[82:85]// 0000000077A4: D3F30052 1D4A295C
	v_mfma_f32_16x16x32_fp8_fp8 v[82:85], a[94:95], a[22:23], v[82:85]// 0000000077AC: D3F30052 1D4A2D5E
	v_mfma_f32_16x16x32_fp8_fp8 v[82:85], a[96:97], a[24:25], v[82:85]// 0000000077B4: D3F30052 1D4A3160
	v_mfma_f32_16x16x32_fp8_fp8 v[82:85], a[98:99], a[26:27], v[82:85]// 0000000077BC: D3F30052 1D4A3562
	v_mfma_f32_16x16x32_fp8_fp8 v[82:85], a[100:101], a[28:29], v[82:85]// 0000000077C4: D3F30052 1D4A3964
	v_mfma_f32_16x16x32_fp8_fp8 v[82:85], a[102:103], a[30:31], v[82:85]// 0000000077CC: D3F30052 1D4A3D66
	v_mfma_f32_16x16x32_fp8_fp8 v[82:85], a[104:105], a[32:33], v[82:85]// 0000000077D4: D3F30052 1D4A4168
	v_mfma_f32_16x16x32_fp8_fp8 v[82:85], a[106:107], a[34:35], v[82:85]// 0000000077DC: D3F30052 1D4A456A
	v_mfma_f32_16x16x32_fp8_fp8 v[86:89], a[72:73], a[36:37], 0// 0000000077E4: D3F30056 1A024948
	v_mfma_f32_16x16x32_fp8_fp8 v[86:89], a[74:75], a[38:39], v[86:89]// 0000000077EC: D3F30056 1D5A4D4A
	v_mfma_f32_16x16x32_fp8_fp8 v[86:89], a[76:77], a[40:41], v[86:89]// 0000000077F4: D3F30056 1D5A514C
	v_mfma_f32_16x16x32_fp8_fp8 v[86:89], a[78:79], a[42:43], v[86:89]// 0000000077FC: D3F30056 1D5A554E
	v_mfma_f32_16x16x32_fp8_fp8 v[86:89], a[80:81], a[44:45], v[86:89]// 000000007804: D3F30056 1D5A5950
	v_mfma_f32_16x16x32_fp8_fp8 v[86:89], a[82:83], a[46:47], v[86:89]// 00000000780C: D3F30056 1D5A5D52
	v_mfma_f32_16x16x32_fp8_fp8 v[86:89], a[84:85], a[48:49], v[86:89]// 000000007814: D3F30056 1D5A6154
	v_mfma_f32_16x16x32_fp8_fp8 v[86:89], a[86:87], a[50:51], v[86:89]// 00000000781C: D3F30056 1D5A6556
	v_mfma_f32_16x16x32_fp8_fp8 v[86:89], a[88:89], a[52:53], v[86:89]// 000000007824: D3F30056 1D5A6958
	v_mfma_f32_16x16x32_fp8_fp8 v[86:89], a[90:91], a[54:55], v[86:89]// 00000000782C: D3F30056 1D5A6D5A
	v_mfma_f32_16x16x32_fp8_fp8 v[86:89], a[92:93], a[56:57], v[86:89]// 000000007834: D3F30056 1D5A715C
	v_mfma_f32_16x16x32_fp8_fp8 v[86:89], a[94:95], a[58:59], v[86:89]// 00000000783C: D3F30056 1D5A755E
	v_mfma_f32_16x16x32_fp8_fp8 v[86:89], a[96:97], a[60:61], v[86:89]// 000000007844: D3F30056 1D5A7960
	v_mfma_f32_16x16x32_fp8_fp8 v[86:89], a[98:99], a[62:63], v[86:89]// 00000000784C: D3F30056 1D5A7D62
	v_mfma_f32_16x16x32_fp8_fp8 v[86:89], a[100:101], a[64:65], v[86:89]// 000000007854: D3F30056 1D5A8164
	v_mfma_f32_16x16x32_fp8_fp8 v[86:89], a[102:103], a[66:67], v[86:89]// 00000000785C: D3F30056 1D5A8566
	v_mfma_f32_16x16x32_fp8_fp8 v[86:89], a[104:105], a[68:69], v[86:89]// 000000007864: D3F30056 1D5A8968
	v_mfma_f32_16x16x32_fp8_fp8 v[86:89], a[106:107], a[70:71], v[86:89]// 00000000786C: D3F30056 1D5A8D6A
	s_nop 8                                                    // 000000007874: BF800008
	s_cmp_le_i32 s83, s82                                      // 000000007878: BF055253
	s_cbranch_scc1 label_1583                                  // 00000000787C: BF850023
	s_add_u32 s57, s82, 0                                      // 000000007880: 80398052
	v_mov_b32_e32 v38, s57                                     // 000000007884: 7E4C0239
	s_sub_u32 s56, s83, 63                                     // 000000007888: 80B8BF53
	s_mul_i32 s57, s7, 16                                      // 00000000788C: 92399007
	v_lshrrev_b32_e32 v47, 4, v0                               // 000000007890: 205E0084
	v_mul_i32_i24_e32 v47, 4, v47                              // 000000007894: 0C5E5E84
	v_add_u32_e32 v47, s56, v47                                // 000000007898: 685E5E38
	v_add_u32_e32 v47, s57, v47                                // 00000000789C: 685E5E39
	v_add_u32_e32 v48, 1, v47                                  // 0000000078A0: 68605E81
	v_add_u32_e32 v49, 2, v47                                  // 0000000078A4: 68625E82
	v_add_u32_e32 v50, 3, v47                                  // 0000000078A8: 68645E83
	v_cmp_le_u32_e64 s[32:33], v47, v38                        // 0000000078AC: D0CB0020 00024D2F
	v_add_u32_e32 v47, 64, v47                                 // 0000000078B4: 685E5EC0
	s_nop 0                                                    // 0000000078B8: BF800000
	v_cndmask_b32_e64 v82, v11, v82, s[32:33]                  // 0000000078BC: D1000052 0082A50B
	v_cmp_le_u32_e64 s[32:33], v48, v38                        // 0000000078C4: D0CB0020 00024D30
	v_add_u32_e32 v48, 64, v48                                 // 0000000078CC: 686060C0
	s_nop 0                                                    // 0000000078D0: BF800000
	v_cndmask_b32_e64 v83, v11, v83, s[32:33]                  // 0000000078D4: D1000053 0082A70B
	v_cmp_le_u32_e64 s[32:33], v49, v38                        // 0000000078DC: D0CB0020 00024D31
	v_add_u32_e32 v49, 64, v49                                 // 0000000078E4: 686262C0
	s_nop 0                                                    // 0000000078E8: BF800000
	v_cndmask_b32_e64 v84, v11, v84, s[32:33]                  // 0000000078EC: D1000054 0082A90B
	v_cmp_le_u32_e64 s[32:33], v50, v38                        // 0000000078F4: D0CB0020 00024D32
	v_add_u32_e32 v50, 64, v50                                 // 0000000078FC: 686464C0
	s_nop 0                                                    // 000000007900: BF800000
	v_cndmask_b32_e64 v85, v11, v85, s[32:33]                  // 000000007904: D1000055 0082AB0B

000000000000790c <label_1583>:
	v_mov_b32_e32 v8, v82                                      // 00000000790C: 7E100352
	v_max3_f32 v8, v82, v83, v8                                // 000000007910: D1D30008 0422A752
	v_max3_f32 v8, v84, v85, v8                                // 000000007918: D1D30008 0422AB54
	ds_write_b32 v5, v8 offset:21120                           // 000000007920: D81A5280 00000805
	v_perm_b32 v34, v188, v186, s54                            // 000000007928: D1ED0022 00DB75BC
	v_perm_b32 v35, v188, v186, s55                            // 000000007930: D1ED0023 00DF75BC
	v_perm_b32 v36, v192, v190, s54                            // 000000007938: D1ED0024 00DB7DC0
	v_perm_b32 v37, v192, v190, s55                            // 000000007940: D1ED0025 00DF7DC0
	v_perm_b32 v218, v36, v34, s53                             // 000000007948: D1ED00DA 00D64524
	v_perm_b32 v219, v36, v34, s52                             // 000000007950: D1ED00DB 00D24524
	v_perm_b32 v220, v37, v35, s53                             // 000000007958: D1ED00DC 00D64725
	v_perm_b32 v221, v37, v35, s52                             // 000000007960: D1ED00DD 00D24725
	v_accvgpr_write_b32 a108, v218                             // 000000007968: D3D9406C 180001DA
	v_accvgpr_write_b32 a112, v219                             // 000000007970: D3D94070 180001DB
	v_accvgpr_write_b32 a116, v220                             // 000000007978: D3D94074 180001DC
	v_accvgpr_write_b32 a120, v221                             // 000000007980: D3D94078 180001DD
	v_perm_b32 v34, v189, v187, s54                            // 000000007988: D1ED0022 00DB77BD
	v_perm_b32 v35, v189, v187, s55                            // 000000007990: D1ED0023 00DF77BD
	v_perm_b32 v36, v193, v191, s54                            // 000000007998: D1ED0024 00DB7FC1
	v_perm_b32 v37, v193, v191, s55                            // 0000000079A0: D1ED0025 00DF7FC1
	v_perm_b32 v218, v36, v34, s53                             // 0000000079A8: D1ED00DA 00D64524
	v_perm_b32 v219, v36, v34, s52                             // 0000000079B0: D1ED00DB 00D24524
	v_perm_b32 v220, v37, v35, s53                             // 0000000079B8: D1ED00DC 00D64725
	v_perm_b32 v221, v37, v35, s52                             // 0000000079C0: D1ED00DD 00D24725
	v_accvgpr_write_b32 a124, v218                             // 0000000079C8: D3D9407C 180001DA
	v_accvgpr_write_b32 a128, v219                             // 0000000079D0: D3D94080 180001DB
	v_accvgpr_write_b32 a132, v220                             // 0000000079D8: D3D94084 180001DC
	v_accvgpr_write_b32 a136, v221                             // 0000000079E0: D3D94088 180001DD
	s_waitcnt lgkmcnt(0)                                       // 0000000079E8: BF8CC07F
	s_barrier                                                  // 0000000079EC: BF8A0000
	v_perm_b32 v34, v196, v194, s54                            // 0000000079F0: D1ED0022 00DB85C4
	v_perm_b32 v35, v196, v194, s55                            // 0000000079F8: D1ED0023 00DF85C4
	v_perm_b32 v36, v200, v198, s54                            // 000000007A00: D1ED0024 00DB8DC8
	v_perm_b32 v37, v200, v198, s55                            // 000000007A08: D1ED0025 00DF8DC8
	v_perm_b32 v218, v36, v34, s53                             // 000000007A10: D1ED00DA 00D64524
	v_perm_b32 v219, v36, v34, s52                             // 000000007A18: D1ED00DB 00D24524
	v_perm_b32 v220, v37, v35, s53                             // 000000007A20: D1ED00DC 00D64725
	v_perm_b32 v221, v37, v35, s52                             // 000000007A28: D1ED00DD 00D24725
	v_accvgpr_write_b32 a109, v218                             // 000000007A30: D3D9406D 180001DA
	v_accvgpr_write_b32 a113, v219                             // 000000007A38: D3D94071 180001DB
	v_accvgpr_write_b32 a117, v220                             // 000000007A40: D3D94075 180001DC
	v_accvgpr_write_b32 a121, v221                             // 000000007A48: D3D94079 180001DD
	ds_read_b32 v58, v4 offset:21120                           // 000000007A50: D86C5280 3A000004
	ds_read_b32 v59, v4 offset:21184                           // 000000007A58: D86C52C0 3B000004
	ds_read_b32 v60, v4 offset:21248                           // 000000007A60: D86C5300 3C000004
	ds_read_b32 v61, v4 offset:21312                           // 000000007A68: D86C5340 3D000004
	ds_read_b32 v62, v4 offset:21376                           // 000000007A70: D86C5380 3E000004
	ds_read_b32 v63, v4 offset:21440                           // 000000007A78: D86C53C0 3F000004
	ds_read_b32 v64, v4 offset:21504                           // 000000007A80: D86C5400 40000004
	ds_read_b32 v65, v4 offset:21568                           // 000000007A88: D86C5440 41000004
	ds_read_b32 v66, v4 offset:21632                           // 000000007A90: D86C5480 42000004
	ds_read_b32 v67, v4 offset:21696                           // 000000007A98: D86C54C0 43000004
	ds_read_b32 v68, v4 offset:21760                           // 000000007AA0: D86C5500 44000004
	ds_read_b32 v69, v4 offset:21824                           // 000000007AA8: D86C5540 45000004
	ds_read_b32 v70, v4 offset:21888                           // 000000007AB0: D86C5580 46000004
	ds_read_b32 v71, v4 offset:21952                           // 000000007AB8: D86C55C0 47000004
	ds_read_b32 v72, v4 offset:22016                           // 000000007AC0: D86C5600 48000004
	ds_read_b32 v73, v4 offset:22080                           // 000000007AC8: D86C5640 49000004
	v_perm_b32 v34, v197, v195, s54                            // 000000007AD0: D1ED0022 00DB87C5
	v_perm_b32 v35, v197, v195, s55                            // 000000007AD8: D1ED0023 00DF87C5
	v_perm_b32 v36, v201, v199, s54                            // 000000007AE0: D1ED0024 00DB8FC9
	v_perm_b32 v37, v201, v199, s55                            // 000000007AE8: D1ED0025 00DF8FC9
	v_perm_b32 v218, v36, v34, s53                             // 000000007AF0: D1ED00DA 00D64524
	v_perm_b32 v219, v36, v34, s52                             // 000000007AF8: D1ED00DB 00D24524
	v_perm_b32 v220, v37, v35, s53                             // 000000007B00: D1ED00DC 00D64725
	v_perm_b32 v221, v37, v35, s52                             // 000000007B08: D1ED00DD 00D24725
	v_accvgpr_write_b32 a125, v218                             // 000000007B10: D3D9407D 180001DA
	v_accvgpr_write_b32 a129, v219                             // 000000007B18: D3D94081 180001DB
	v_accvgpr_write_b32 a133, v220                             // 000000007B20: D3D94085 180001DC
	v_accvgpr_write_b32 a137, v221                             // 000000007B28: D3D94089 180001DD
	s_waitcnt lgkmcnt(0)                                       // 000000007B30: BF8CC07F
	v_max3_f32 v8, v58, v59, v8                                // 000000007B34: D1D30008 0422773A
	v_max3_f32 v8, v60, v61, v8                                // 000000007B3C: D1D30008 04227B3C
	v_max3_f32 v8, v62, v63, v8                                // 000000007B44: D1D30008 04227F3E
	v_max3_f32 v8, v64, v65, v8                                // 000000007B4C: D1D30008 04228340
	v_max3_f32 v8, v66, v67, v8                                // 000000007B54: D1D30008 04228742
	v_max3_f32 v8, v68, v69, v8                                // 000000007B5C: D1D30008 04228B44
	v_max3_f32 v8, v70, v71, v8                                // 000000007B64: D1D30008 04228F46
	v_max3_f32 v8, v72, v73, v8                                // 000000007B6C: D1D30008 04229348
	v_cmp_eq_u32_e64 s[32:33], v11, v12                        // 000000007B74: D0CA0020 0002190B
	v_max_f32_e32 v14, v8, v12                                 // 000000007B7C: 161C1908
	v_sub_f32_e32 v20, v12, v14                                // 000000007B80: 04281D0C
	v_cndmask_b32_e64 v20, v20, 0, s[32:33]                    // 000000007B84: D1000014 00810114
	v_mov_b32_e32 v12, v14                                     // 000000007B8C: 7E18030E
	v_mul_f32_e32 v9, s5, v14                                  // 000000007B90: 0A121C05
	v_mul_f32_e32 v20, s5, v20                                 // 000000007B94: 0A282805
	v_exp_f32_e32 v20, v20                                     // 000000007B98: 7E284114
	s_and_b32 s56, s48, 0xff                                   // 000000007B9C: 8638FF30 000000FF
	v_mov_b32_e32 v46, s56                                     // 000000007BA4: 7E5C0238
	v_lshrrev_b32_e32 v47, 4, v0                               // 000000007BA8: 205E0084
	v_mul_i32_i24_e32 v47, 4, v47                              // 000000007BAC: 0C5E5E84
	s_mul_i32 s56, s7, 16                                      // 000000007BB0: 92389007
	v_add_u32_e32 v47, s56, v47                                // 000000007BB4: 685E5E38
	v_add_u32_e32 v48, 1, v47                                  // 000000007BB8: 68605E81
	v_add_u32_e32 v49, 2, v47                                  // 000000007BBC: 68625E82
	v_add_u32_e32 v50, 3, v47                                  // 000000007BC0: 68645E83
	v_cmp_lt_u32_e64 s[32:33], v47, v46                        // 000000007BC4: D0C90020 00025D2F
	v_add_u32_e32 v47, 64, v47                                 // 000000007BCC: 685E5EC0
	s_nop 0                                                    // 000000007BD0: BF800000
	v_cndmask_b32_e64 v82, v11, v82, s[32:33]                  // 000000007BD4: D1000052 0082A50B
	v_cmp_lt_u32_e64 s[32:33], v48, v46                        // 000000007BDC: D0C90020 00025D30
	v_add_u32_e32 v48, 64, v48                                 // 000000007BE4: 686060C0
	s_nop 0                                                    // 000000007BE8: BF800000
	v_cndmask_b32_e64 v83, v11, v83, s[32:33]                  // 000000007BEC: D1000053 0082A70B
	v_cmp_lt_u32_e64 s[32:33], v49, v46                        // 000000007BF4: D0C90020 00025D31
	v_add_u32_e32 v49, 64, v49                                 // 000000007BFC: 686262C0
	s_nop 0                                                    // 000000007C00: BF800000
	v_cndmask_b32_e64 v84, v11, v84, s[32:33]                  // 000000007C04: D1000054 0082A90B
	v_cmp_lt_u32_e64 s[32:33], v50, v46                        // 000000007C0C: D0C90020 00025D32
	v_add_u32_e32 v50, 64, v50                                 // 000000007C14: 686464C0
	s_nop 0                                                    // 000000007C18: BF800000
	v_cndmask_b32_e64 v85, v11, v85, s[32:33]                  // 000000007C1C: D1000055 0082AB0B
	v_fma_f32 v82, v82, s5, -v9                                // 000000007C24: D1CB0052 84240B52
	v_fma_f32 v83, v83, s5, -v9                                // 000000007C2C: D1CB0053 84240B53
	v_fma_f32 v84, v84, s5, -v9                                // 000000007C34: D1CB0054 84240B54
	v_fma_f32 v85, v85, s5, -v9                                // 000000007C3C: D1CB0055 84240B55
	v_exp_f32_e32 v82, v82                                     // 000000007C44: 7EA44152
	v_exp_f32_e32 v83, v83                                     // 000000007C48: 7EA64153
	v_exp_f32_e32 v84, v84                                     // 000000007C4C: 7EA84154
	v_exp_f32_e32 v85, v85                                     // 000000007C50: 7EAA4155
	v_mul_f32_e32 v15, v20, v15                                // 000000007C54: 0A1E1F14
	v_mov_b32_e32 v17, v82                                     // 000000007C58: 7E220352
	v_add_f32_e32 v17, v83, v17                                // 000000007C5C: 02222353
	v_add_f32_e32 v17, v84, v17                                // 000000007C60: 02222354
	v_add_f32_e32 v17, v85, v17                                // 000000007C64: 02222355
	v_add_f32_e32 v15, v17, v15                                // 000000007C68: 021E1F11
	v_cvt_pk_fp8_f32 v82, v82, v83                             // 000000007C6C: D2A20052 0002A752
	v_cvt_pk_fp8_f32 v82, v84, v85 op_sel:[0,0,1]              // 000000007C74: D2A24052 0002AB54
	ds_write_b32 v7, v82                                       // 000000007C7C: D81A0000 00005207
	s_waitcnt lgkmcnt(0)                                       // 000000007C84: BF8CC07F
	s_barrier                                                  // 000000007C88: BF8A0000
	ds_read_b64 v[82:83], v6                                   // 000000007C8C: D8EC0000 52000006
	ds_read_b64 v[84:85], v6 offset:32                         // 000000007C94: D8EC0020 54000006
	v_mov_b32_e32 v34, v20                                     // 000000007C9C: 7E440314
	v_mov_b32_e32 v35, v20                                     // 000000007CA0: 7E460314
	v_pk_mul_f32 v[90:91], v[34:35], v[90:91]                  // 000000007CA4: D3B1405A 1802B522
	v_pk_mul_f32 v[92:93], v[34:35], v[92:93]                  // 000000007CAC: D3B1405C 1802B922
	v_pk_mul_f32 v[94:95], v[34:35], v[94:95]                  // 000000007CB4: D3B1405E 1802BD22
	v_pk_mul_f32 v[96:97], v[34:35], v[96:97]                  // 000000007CBC: D3B14060 1802C122
	v_pk_mul_f32 v[98:99], v[34:35], v[98:99]                  // 000000007CC4: D3B14062 1802C522
	v_pk_mul_f32 v[100:101], v[34:35], v[100:101]              // 000000007CCC: D3B14064 1802C922
	v_pk_mul_f32 v[102:103], v[34:35], v[102:103]              // 000000007CD4: D3B14066 1802CD22
	v_pk_mul_f32 v[104:105], v[34:35], v[104:105]              // 000000007CDC: D3B14068 1802D122
	v_pk_mul_f32 v[106:107], v[34:35], v[106:107]              // 000000007CE4: D3B1406A 1802D522
	v_pk_mul_f32 v[108:109], v[34:35], v[108:109]              // 000000007CEC: D3B1406C 1802D922
	v_pk_mul_f32 v[110:111], v[34:35], v[110:111]              // 000000007CF4: D3B1406E 1802DD22
	v_pk_mul_f32 v[112:113], v[34:35], v[112:113]              // 000000007CFC: D3B14070 1802E122
	v_pk_mul_f32 v[114:115], v[34:35], v[114:115]              // 000000007D04: D3B14072 1802E522
	v_pk_mul_f32 v[116:117], v[34:35], v[116:117]              // 000000007D0C: D3B14074 1802E922
	v_pk_mul_f32 v[118:119], v[34:35], v[118:119]              // 000000007D14: D3B14076 1802ED22
	v_pk_mul_f32 v[120:121], v[34:35], v[120:121]              // 000000007D1C: D3B14078 1802F122
	s_waitcnt lgkmcnt(0)                                       // 000000007D24: BF8CC07F
	s_cmp_le_i32 s83, s82                                      // 000000007D28: BF055253
	s_cbranch_scc1 label_16AF                                  // 000000007D2C: BF850023
	s_add_u32 s57, s82, 1                                      // 000000007D30: 80398152
	v_mov_b32_e32 v38, s57                                     // 000000007D34: 7E4C0239
	s_sub_u32 s56, s83, 63                                     // 000000007D38: 80B8BF53
	s_mul_i32 s57, s7, 16                                      // 000000007D3C: 92399007
	v_lshrrev_b32_e32 v47, 4, v0                               // 000000007D40: 205E0084
	v_mul_i32_i24_e32 v47, 4, v47                              // 000000007D44: 0C5E5E84
	v_add_u32_e32 v47, s56, v47                                // 000000007D48: 685E5E38
	v_add_u32_e32 v47, s57, v47                                // 000000007D4C: 685E5E39
	v_add_u32_e32 v48, 1, v47                                  // 000000007D50: 68605E81
	v_add_u32_e32 v49, 2, v47                                  // 000000007D54: 68625E82
	v_add_u32_e32 v50, 3, v47                                  // 000000007D58: 68645E83
	v_cmp_le_u32_e64 s[32:33], v47, v38                        // 000000007D5C: D0CB0020 00024D2F
	v_add_u32_e32 v47, 64, v47                                 // 000000007D64: 685E5EC0
	s_nop 0                                                    // 000000007D68: BF800000
	v_cndmask_b32_e64 v86, v11, v86, s[32:33]                  // 000000007D6C: D1000056 0082AD0B
	v_cmp_le_u32_e64 s[32:33], v48, v38                        // 000000007D74: D0CB0020 00024D30
	v_add_u32_e32 v48, 64, v48                                 // 000000007D7C: 686060C0
	s_nop 0                                                    // 000000007D80: BF800000
	v_cndmask_b32_e64 v87, v11, v87, s[32:33]                  // 000000007D84: D1000057 0082AF0B
	v_cmp_le_u32_e64 s[32:33], v49, v38                        // 000000007D8C: D0CB0020 00024D31
	v_add_u32_e32 v49, 64, v49                                 // 000000007D94: 686262C0
	s_nop 0                                                    // 000000007D98: BF800000
	v_cndmask_b32_e64 v88, v11, v88, s[32:33]                  // 000000007D9C: D1000058 0082B10B
	v_cmp_le_u32_e64 s[32:33], v50, v38                        // 000000007DA4: D0CB0020 00024D32
	v_add_u32_e32 v50, 64, v50                                 // 000000007DAC: 686464C0
	s_nop 0                                                    // 000000007DB0: BF800000
	v_cndmask_b32_e64 v89, v11, v89, s[32:33]                  // 000000007DB4: D1000059 0082B30B

0000000000007dbc <label_16AF>:
	s_add_u32 s83, s84, s83                                    // 000000007DBC: 80535354
	v_mov_b32_e32 v8, v86                                      // 000000007DC0: 7E100356
	v_max3_f32 v8, v86, v87, v8                                // 000000007DC4: D1D30008 0422AF56
	v_max3_f32 v8, v88, v89, v8                                // 000000007DCC: D1D30008 0422B358
	ds_write_b32 v5, v8 offset:21120                           // 000000007DD4: D81A5280 00000805
	v_perm_b32 v34, v204, v202, s54                            // 000000007DDC: D1ED0022 00DB95CC
	v_perm_b32 v35, v204, v202, s55                            // 000000007DE4: D1ED0023 00DF95CC
	v_perm_b32 v36, v208, v206, s54                            // 000000007DEC: D1ED0024 00DB9DD0
	v_perm_b32 v37, v208, v206, s55                            // 000000007DF4: D1ED0025 00DF9DD0
	v_perm_b32 v218, v36, v34, s53                             // 000000007DFC: D1ED00DA 00D64524
	v_perm_b32 v219, v36, v34, s52                             // 000000007E04: D1ED00DB 00D24524
	v_perm_b32 v220, v37, v35, s53                             // 000000007E0C: D1ED00DC 00D64725
	v_perm_b32 v221, v37, v35, s52                             // 000000007E14: D1ED00DD 00D24725
	v_accvgpr_write_b32 a110, v218                             // 000000007E1C: D3D9406E 180001DA
	v_accvgpr_write_b32 a114, v219                             // 000000007E24: D3D94072 180001DB
	v_accvgpr_write_b32 a118, v220                             // 000000007E2C: D3D94076 180001DC
	v_accvgpr_write_b32 a122, v221                             // 000000007E34: D3D9407A 180001DD
	v_perm_b32 v34, v205, v203, s54                            // 000000007E3C: D1ED0022 00DB97CD
	v_perm_b32 v35, v205, v203, s55                            // 000000007E44: D1ED0023 00DF97CD
	v_perm_b32 v36, v209, v207, s54                            // 000000007E4C: D1ED0024 00DB9FD1
	v_perm_b32 v37, v209, v207, s55                            // 000000007E54: D1ED0025 00DF9FD1
	v_perm_b32 v218, v36, v34, s53                             // 000000007E5C: D1ED00DA 00D64524
	v_perm_b32 v219, v36, v34, s52                             // 000000007E64: D1ED00DB 00D24524
	v_perm_b32 v220, v37, v35, s53                             // 000000007E6C: D1ED00DC 00D64725
	v_perm_b32 v221, v37, v35, s52                             // 000000007E74: D1ED00DD 00D24725
	v_accvgpr_write_b32 a126, v218                             // 000000007E7C: D3D9407E 180001DA
	v_accvgpr_write_b32 a130, v219                             // 000000007E84: D3D94082 180001DB
	v_accvgpr_write_b32 a134, v220                             // 000000007E8C: D3D94086 180001DC
	v_accvgpr_write_b32 a138, v221                             // 000000007E94: D3D9408A 180001DD
	s_waitcnt lgkmcnt(0)                                       // 000000007E9C: BF8CC07F
	s_barrier                                                  // 000000007EA0: BF8A0000
	v_perm_b32 v34, v212, v210, s54                            // 000000007EA4: D1ED0022 00DBA5D4
	v_perm_b32 v35, v212, v210, s55                            // 000000007EAC: D1ED0023 00DFA5D4
	v_perm_b32 v36, v216, v214, s54                            // 000000007EB4: D1ED0024 00DBADD8
	v_perm_b32 v37, v216, v214, s55                            // 000000007EBC: D1ED0025 00DFADD8
	v_perm_b32 v218, v36, v34, s53                             // 000000007EC4: D1ED00DA 00D64524
	v_perm_b32 v219, v36, v34, s52                             // 000000007ECC: D1ED00DB 00D24524
	v_perm_b32 v220, v37, v35, s53                             // 000000007ED4: D1ED00DC 00D64725
	v_perm_b32 v221, v37, v35, s52                             // 000000007EDC: D1ED00DD 00D24725
	v_accvgpr_write_b32 a111, v218                             // 000000007EE4: D3D9406F 180001DA
	v_accvgpr_write_b32 a115, v219                             // 000000007EEC: D3D94073 180001DB
	v_accvgpr_write_b32 a119, v220                             // 000000007EF4: D3D94077 180001DC
	v_accvgpr_write_b32 a123, v221                             // 000000007EFC: D3D9407B 180001DD
	ds_read_b32 v58, v4 offset:21120                           // 000000007F04: D86C5280 3A000004
	ds_read_b32 v59, v4 offset:21184                           // 000000007F0C: D86C52C0 3B000004
	ds_read_b32 v60, v4 offset:21248                           // 000000007F14: D86C5300 3C000004
	ds_read_b32 v61, v4 offset:21312                           // 000000007F1C: D86C5340 3D000004
	ds_read_b32 v62, v4 offset:21376                           // 000000007F24: D86C5380 3E000004
	ds_read_b32 v63, v4 offset:21440                           // 000000007F2C: D86C53C0 3F000004
	ds_read_b32 v64, v4 offset:21504                           // 000000007F34: D86C5400 40000004
	ds_read_b32 v65, v4 offset:21568                           // 000000007F3C: D86C5440 41000004
	ds_read_b32 v66, v4 offset:21632                           // 000000007F44: D86C5480 42000004
	ds_read_b32 v67, v4 offset:21696                           // 000000007F4C: D86C54C0 43000004
	ds_read_b32 v68, v4 offset:21760                           // 000000007F54: D86C5500 44000004
	ds_read_b32 v69, v4 offset:21824                           // 000000007F5C: D86C5540 45000004
	ds_read_b32 v70, v4 offset:21888                           // 000000007F64: D86C5580 46000004
	ds_read_b32 v71, v4 offset:21952                           // 000000007F6C: D86C55C0 47000004
	ds_read_b32 v72, v4 offset:22016                           // 000000007F74: D86C5600 48000004
	ds_read_b32 v73, v4 offset:22080                           // 000000007F7C: D86C5640 49000004
	v_perm_b32 v34, v213, v211, s54                            // 000000007F84: D1ED0022 00DBA7D5
	v_perm_b32 v35, v213, v211, s55                            // 000000007F8C: D1ED0023 00DFA7D5
	v_perm_b32 v36, v217, v215, s54                            // 000000007F94: D1ED0024 00DBAFD9
	v_perm_b32 v37, v217, v215, s55                            // 000000007F9C: D1ED0025 00DFAFD9
	v_perm_b32 v218, v36, v34, s53                             // 000000007FA4: D1ED00DA 00D64524
	v_perm_b32 v219, v36, v34, s52                             // 000000007FAC: D1ED00DB 00D24524
	v_perm_b32 v220, v37, v35, s53                             // 000000007FB4: D1ED00DC 00D64725
	v_perm_b32 v221, v37, v35, s52                             // 000000007FBC: D1ED00DD 00D24725
	v_accvgpr_write_b32 a127, v218                             // 000000007FC4: D3D9407F 180001DA
	v_accvgpr_write_b32 a131, v219                             // 000000007FCC: D3D94083 180001DB
	v_accvgpr_write_b32 a135, v220                             // 000000007FD4: D3D94087 180001DC
	v_accvgpr_write_b32 a139, v221                             // 000000007FDC: D3D9408B 180001DD
	s_waitcnt lgkmcnt(0)                                       // 000000007FE4: BF8CC07F
	v_max3_f32 v8, v58, v59, v8                                // 000000007FE8: D1D30008 0422773A
	v_max3_f32 v8, v60, v61, v8                                // 000000007FF0: D1D30008 04227B3C
	v_max3_f32 v8, v62, v63, v8                                // 000000007FF8: D1D30008 04227F3E
	v_max3_f32 v8, v64, v65, v8                                // 000000008000: D1D30008 04228340
	v_max3_f32 v8, v66, v67, v8                                // 000000008008: D1D30008 04228742
	v_max3_f32 v8, v68, v69, v8                                // 000000008010: D1D30008 04228B44
	v_max3_f32 v8, v70, v71, v8                                // 000000008018: D1D30008 04228F46
	v_max3_f32 v8, v72, v73, v8                                // 000000008020: D1D30008 04229348
	v_cmp_eq_u32_e64 s[32:33], v11, v13                        // 000000008028: D0CA0020 00021B0B
	v_max_f32_e32 v14, v8, v13                                 // 000000008030: 161C1B08
	v_sub_f32_e32 v21, v13, v14                                // 000000008034: 042A1D0D
	v_cndmask_b32_e64 v21, v21, 0, s[32:33]                    // 000000008038: D1000015 00810115
	v_mov_b32_e32 v13, v14                                     // 000000008040: 7E1A030E
	v_mul_f32_e32 v9, s5, v14                                  // 000000008044: 0A121C05
	v_mul_f32_e32 v21, s5, v21                                 // 000000008048: 0A2A2A05
	v_exp_f32_e32 v21, v21                                     // 00000000804C: 7E2A4115
	s_and_b32 s56, s48, 0xff                                   // 000000008050: 8638FF30 000000FF
	v_mov_b32_e32 v46, s56                                     // 000000008058: 7E5C0238
	v_lshrrev_b32_e32 v47, 4, v0                               // 00000000805C: 205E0084
	v_mul_i32_i24_e32 v47, 4, v47                              // 000000008060: 0C5E5E84
	s_mul_i32 s56, s7, 16                                      // 000000008064: 92389007
	v_add_u32_e32 v47, s56, v47                                // 000000008068: 685E5E38
	v_add_u32_e32 v48, 1, v47                                  // 00000000806C: 68605E81
	v_add_u32_e32 v49, 2, v47                                  // 000000008070: 68625E82
	v_add_u32_e32 v50, 3, v47                                  // 000000008074: 68645E83
	v_cmp_lt_u32_e64 s[32:33], v47, v46                        // 000000008078: D0C90020 00025D2F
	v_add_u32_e32 v47, 64, v47                                 // 000000008080: 685E5EC0
	s_nop 0                                                    // 000000008084: BF800000
	v_cndmask_b32_e64 v86, v11, v86, s[32:33]                  // 000000008088: D1000056 0082AD0B
	v_cmp_lt_u32_e64 s[32:33], v48, v46                        // 000000008090: D0C90020 00025D30
	v_add_u32_e32 v48, 64, v48                                 // 000000008098: 686060C0
	s_nop 0                                                    // 00000000809C: BF800000
	v_cndmask_b32_e64 v87, v11, v87, s[32:33]                  // 0000000080A0: D1000057 0082AF0B
	v_cmp_lt_u32_e64 s[32:33], v49, v46                        // 0000000080A8: D0C90020 00025D31
	v_add_u32_e32 v49, 64, v49                                 // 0000000080B0: 686262C0
	s_nop 0                                                    // 0000000080B4: BF800000
	v_cndmask_b32_e64 v88, v11, v88, s[32:33]                  // 0000000080B8: D1000058 0082B10B
	v_cmp_lt_u32_e64 s[32:33], v50, v46                        // 0000000080C0: D0C90020 00025D32
	v_add_u32_e32 v50, 64, v50                                 // 0000000080C8: 686464C0
	s_nop 0                                                    // 0000000080CC: BF800000
	v_cndmask_b32_e64 v89, v11, v89, s[32:33]                  // 0000000080D0: D1000059 0082B30B
	v_fma_f32 v86, v86, s5, -v9                                // 0000000080D8: D1CB0056 84240B56
	v_fma_f32 v87, v87, s5, -v9                                // 0000000080E0: D1CB0057 84240B57
	v_fma_f32 v88, v88, s5, -v9                                // 0000000080E8: D1CB0058 84240B58
	v_fma_f32 v89, v89, s5, -v9                                // 0000000080F0: D1CB0059 84240B59
	v_exp_f32_e32 v86, v86                                     // 0000000080F8: 7EAC4156
	v_exp_f32_e32 v87, v87                                     // 0000000080FC: 7EAE4157
	v_exp_f32_e32 v88, v88                                     // 000000008100: 7EB04158
	v_exp_f32_e32 v89, v89                                     // 000000008104: 7EB24159
	v_mul_f32_e32 v16, v21, v16                                // 000000008108: 0A202115
	v_mov_b32_e32 v17, v86                                     // 00000000810C: 7E220356
	v_add_f32_e32 v17, v87, v17                                // 000000008110: 02222357
	v_add_f32_e32 v17, v88, v17                                // 000000008114: 02222358
	;; [unrolled: 1-line block ×3, first 2 shown]
	v_add_f32_e32 v16, v17, v16                                // 00000000811C: 02202111
	v_cvt_pk_fp8_f32 v86, v86, v87                             // 000000008120: D2A20056 0002AF56
	v_cvt_pk_fp8_f32 v86, v88, v89 op_sel:[0,0,1]              // 000000008128: D2A24056 0002B358
	ds_write_b32 v7, v86                                       // 000000008130: D81A0000 00005607
	v_mov_b32_e32 v34, v21                                     // 000000008138: 7E440315
	v_mov_b32_e32 v35, v21                                     // 00000000813C: 7E460315
	v_pk_mul_f32 v[122:123], v[34:35], v[122:123]              // 000000008140: D3B1407A 1802F522
	v_pk_mul_f32 v[124:125], v[34:35], v[124:125]              // 000000008148: D3B1407C 1802F922
	v_pk_mul_f32 v[126:127], v[34:35], v[126:127]              // 000000008150: D3B1407E 1802FD22
	v_pk_mul_f32 v[128:129], v[34:35], v[128:129]              // 000000008158: D3B14080 18030122
	v_pk_mul_f32 v[130:131], v[34:35], v[130:131]              // 000000008160: D3B14082 18030522
	v_pk_mul_f32 v[132:133], v[34:35], v[132:133]              // 000000008168: D3B14084 18030922
	v_pk_mul_f32 v[134:135], v[34:35], v[134:135]              // 000000008170: D3B14086 18030D22
	v_pk_mul_f32 v[136:137], v[34:35], v[136:137]              // 000000008178: D3B14088 18031122
	v_pk_mul_f32 v[138:139], v[34:35], v[138:139]              // 000000008180: D3B1408A 18031522
	v_pk_mul_f32 v[140:141], v[34:35], v[140:141]              // 000000008188: D3B1408C 18031922
	v_pk_mul_f32 v[142:143], v[34:35], v[142:143]              // 000000008190: D3B1408E 18031D22
	v_pk_mul_f32 v[144:145], v[34:35], v[144:145]              // 000000008198: D3B14090 18032122
	v_pk_mul_f32 v[146:147], v[34:35], v[146:147]              // 0000000081A0: D3B14092 18032522
	v_pk_mul_f32 v[148:149], v[34:35], v[148:149]              // 0000000081A8: D3B14094 18032922
	v_pk_mul_f32 v[150:151], v[34:35], v[150:151]              // 0000000081B0: D3B14096 18032D22
	v_pk_mul_f32 v[152:153], v[34:35], v[152:153]              // 0000000081B8: D3B14098 18033122
	s_waitcnt lgkmcnt(0)                                       // 0000000081C0: BF8CC07F
	s_barrier                                                  // 0000000081C4: BF8A0000
	ds_read_b64 v[86:87], v6                                   // 0000000081C8: D8EC0000 56000006
	ds_read_b64 v[88:89], v6 offset:32                         // 0000000081D0: D8EC0020 58000006
	v_mul_u32_u24_dpp v42, v26, v10 row_newbcast:0 row_mask:0xf bank_mask:0xf// 0000000081D8: 105414FA FF01501A
	v_mul_u32_u24_dpp v43, v26, v10 row_newbcast:1 row_mask:0xf bank_mask:0xf// 0000000081E0: 105614FA FF01511A
	v_mul_u32_u24_dpp v44, v26, v10 row_newbcast:2 row_mask:0xf bank_mask:0xf// 0000000081E8: 105814FA FF01521A
	v_mul_u32_u24_dpp v45, v26, v10 row_newbcast:3 row_mask:0xf bank_mask:0xf// 0000000081F0: 105A14FA FF01531A
	v_mul_u32_u24_dpp v46, v26, v10 row_newbcast:4 row_mask:0xf bank_mask:0xf// 0000000081F8: 105C14FA FF01541A
	v_mul_u32_u24_dpp v47, v26, v10 row_newbcast:5 row_mask:0xf bank_mask:0xf// 000000008200: 105E14FA FF01551A
	v_mul_u32_u24_dpp v48, v26, v10 row_newbcast:6 row_mask:0xf bank_mask:0xf// 000000008208: 106014FA FF01561A
	v_mul_u32_u24_dpp v49, v26, v10 row_newbcast:7 row_mask:0xf bank_mask:0xf// 000000008210: 106214FA FF01571A
	v_mul_u32_u24_dpp v50, v26, v10 row_newbcast:8 row_mask:0xf bank_mask:0xf// 000000008218: 106414FA FF01581A
	v_mul_u32_u24_dpp v51, v26, v10 row_newbcast:9 row_mask:0xf bank_mask:0xf// 000000008220: 106614FA FF01591A
	v_mul_u32_u24_dpp v52, v26, v10 row_newbcast:10 row_mask:0xf bank_mask:0xf// 000000008228: 106814FA FF015A1A
	v_mul_u32_u24_dpp v53, v26, v10 row_newbcast:11 row_mask:0xf bank_mask:0xf// 000000008230: 106A14FA FF015B1A
	v_mul_u32_u24_dpp v54, v26, v10 row_newbcast:12 row_mask:0xf bank_mask:0xf// 000000008238: 106C14FA FF015C1A
	v_mul_u32_u24_dpp v55, v26, v10 row_newbcast:13 row_mask:0xf bank_mask:0xf// 000000008240: 106E14FA FF015D1A
	v_mul_u32_u24_dpp v56, v26, v10 row_newbcast:14 row_mask:0xf bank_mask:0xf// 000000008248: 107014FA FF015E1A
	v_mul_u32_u24_dpp v57, v26, v10 row_newbcast:15 row_mask:0xf bank_mask:0xf// 000000008250: 107214FA FF015F1A
	s_mov_b32 s56, m0                                          // 000000008258: BEB8007C
	s_set_gpr_idx_on s51, gpr_idx(SRC0)                        // 00000000825C: BF110133
	v_add_u32_e32 v38, v42, v3                                 // 000000008260: 684C072A
	v_add_u32_e32 v39, v43, v3                                 // 000000008264: 684E072B
	v_add_u32_e32 v40, v44, v3                                 // 000000008268: 6850072C
	v_add_u32_e32 v41, v45, v3                                 // 00000000826C: 6852072D
	s_set_gpr_idx_off                                          // 000000008270: BF9C0000
	s_mov_b32 m0, s56                                          // 000000008274: BEFC0038
	v_add_u32_e32 v42, v42, v2                                 // 000000008278: 6854052A
	v_add_u32_e32 v43, v43, v2                                 // 00000000827C: 6856052B
	v_add_u32_e32 v44, v44, v2                                 // 000000008280: 6858052C
	v_add_u32_e32 v45, v45, v2                                 // 000000008284: 685A052D
	v_add_u32_e32 v46, v46, v2                                 // 000000008288: 685C052E
	v_add_u32_e32 v47, v47, v2                                 // 00000000828C: 685E052F
	v_add_u32_e32 v48, v48, v2                                 // 000000008290: 68600530
	v_add_u32_e32 v49, v49, v2                                 // 000000008294: 68620531
	;; [unrolled: 1-line block ×3, first 2 shown]
	v_add_u32_e32 v51, v51, v2                                 // 00000000829C: 68660533
	v_add_u32_e32 v52, v52, v2                                 // 0000000082A0: 68680534
	v_add_u32_e32 v53, v53, v2                                 // 0000000082A4: 686A0535
	v_add_u32_e32 v54, v54, v2                                 // 0000000082A8: 686C0536
	v_add_u32_e32 v55, v55, v2                                 // 0000000082AC: 686E0537
	v_add_u32_e32 v56, v56, v2                                 // 0000000082B0: 68700538
	v_add_u32_e32 v57, v57, v2                                 // 0000000082B4: 68720539
	s_waitcnt lgkmcnt(0)                                       // 0000000082B8: BF8CC07F
	s_waitcnt vmcnt(0)                                         // 0000000082BC: BF8C0F70
	s_barrier                                                  // 0000000082C0: BF8A0000
	v_mfma_f32_16x16x32_fp8_fp8 v[90:93], a[108:109], v[82:83], v[90:93]// 0000000082C4: D3F3005A 0D6AA56C
	v_mfma_f32_16x16x32_fp8_fp8 v[90:93], a[110:111], v[84:85], v[90:93]// 0000000082CC: D3F3005A 0D6AA96E
	v_mfma_f32_16x16x32_fp8_fp8 v[94:97], a[112:113], v[82:83], v[94:97]// 0000000082D4: D3F3005E 0D7AA570
	v_mfma_f32_16x16x32_fp8_fp8 v[94:97], a[114:115], v[84:85], v[94:97]// 0000000082DC: D3F3005E 0D7AA972
	v_mfma_f32_16x16x32_fp8_fp8 v[98:101], a[116:117], v[82:83], v[98:101]// 0000000082E4: D3F30062 0D8AA574
	v_mfma_f32_16x16x32_fp8_fp8 v[98:101], a[118:119], v[84:85], v[98:101]// 0000000082EC: D3F30062 0D8AA976
	v_mfma_f32_16x16x32_fp8_fp8 v[102:105], a[120:121], v[82:83], v[102:105]// 0000000082F4: D3F30066 0D9AA578
	v_mfma_f32_16x16x32_fp8_fp8 v[102:105], a[122:123], v[84:85], v[102:105]// 0000000082FC: D3F30066 0D9AA97A
	v_mfma_f32_16x16x32_fp8_fp8 v[106:109], a[124:125], v[82:83], v[106:109]// 000000008304: D3F3006A 0DAAA57C
	v_mfma_f32_16x16x32_fp8_fp8 v[106:109], a[126:127], v[84:85], v[106:109]// 00000000830C: D3F3006A 0DAAA97E
	v_mfma_f32_16x16x32_fp8_fp8 v[110:113], a[128:129], v[82:83], v[110:113]// 000000008314: D3F3006E 0DBAA580
	v_mfma_f32_16x16x32_fp8_fp8 v[110:113], a[130:131], v[84:85], v[110:113]// 00000000831C: D3F3006E 0DBAA982
	v_mfma_f32_16x16x32_fp8_fp8 v[114:117], a[132:133], v[82:83], v[114:117]// 000000008324: D3F30072 0DCAA584
	v_mfma_f32_16x16x32_fp8_fp8 v[114:117], a[134:135], v[84:85], v[114:117]// 00000000832C: D3F30072 0DCAA986
	v_mfma_f32_16x16x32_fp8_fp8 v[118:121], a[136:137], v[82:83], v[118:121]// 000000008334: D3F30076 0DDAA588
	v_mfma_f32_16x16x32_fp8_fp8 v[118:121], a[138:139], v[84:85], v[118:121]// 00000000833C: D3F30076 0DDAA98A
	v_mfma_f32_16x16x32_fp8_fp8 v[122:125], a[108:109], v[86:87], v[122:125]// 000000008344: D3F3007A 0DEAAD6C
	v_mfma_f32_16x16x32_fp8_fp8 v[122:125], a[110:111], v[88:89], v[122:125]// 00000000834C: D3F3007A 0DEAB16E
	v_mfma_f32_16x16x32_fp8_fp8 v[126:129], a[112:113], v[86:87], v[126:129]// 000000008354: D3F3007E 0DFAAD70
	v_mfma_f32_16x16x32_fp8_fp8 v[126:129], a[114:115], v[88:89], v[126:129]// 00000000835C: D3F3007E 0DFAB172
	v_mfma_f32_16x16x32_fp8_fp8 v[130:133], a[116:117], v[86:87], v[130:133]// 000000008364: D3F30082 0E0AAD74
	v_mfma_f32_16x16x32_fp8_fp8 v[130:133], a[118:119], v[88:89], v[130:133]// 00000000836C: D3F30082 0E0AB176
	v_mfma_f32_16x16x32_fp8_fp8 v[134:137], a[120:121], v[86:87], v[134:137]// 000000008374: D3F30086 0E1AAD78
	v_mfma_f32_16x16x32_fp8_fp8 v[134:137], a[122:123], v[88:89], v[134:137]// 00000000837C: D3F30086 0E1AB17A
	v_mfma_f32_16x16x32_fp8_fp8 v[138:141], a[124:125], v[86:87], v[138:141]// 000000008384: D3F3008A 0E2AAD7C
	v_mfma_f32_16x16x32_fp8_fp8 v[138:141], a[126:127], v[88:89], v[138:141]// 00000000838C: D3F3008A 0E2AB17E
	v_mfma_f32_16x16x32_fp8_fp8 v[142:145], a[128:129], v[86:87], v[142:145]// 000000008394: D3F3008E 0E3AAD80
	v_mfma_f32_16x16x32_fp8_fp8 v[142:145], a[130:131], v[88:89], v[142:145]// 00000000839C: D3F3008E 0E3AB182
	v_mfma_f32_16x16x32_fp8_fp8 v[146:149], a[132:133], v[86:87], v[146:149]// 0000000083A4: D3F30092 0E4AAD84
	v_mfma_f32_16x16x32_fp8_fp8 v[146:149], a[134:135], v[88:89], v[146:149]// 0000000083AC: D3F30092 0E4AB186
	v_mfma_f32_16x16x32_fp8_fp8 v[150:153], a[136:137], v[86:87], v[150:153]// 0000000083B4: D3F30096 0E5AAD88
	v_mfma_f32_16x16x32_fp8_fp8 v[150:153], a[138:139], v[88:89], v[150:153]// 0000000083BC: D3F30096 0E5AB18A
	s_nop 8                                                    // 0000000083C4: BF800008
	s_branch label_1876                                        // 0000000083C8: BF820000

00000000000083cc <label_1876>:
	ds_write_b32 v5, v15 offset:21120                          // 0000000083CC: D81A5280 00000F05
	s_waitcnt lgkmcnt(0)                                       // 0000000083D4: BF8CC07F
	s_barrier                                                  // 0000000083D8: BF8A0000
	ds_read_b32 v58, v4 offset:21120                           // 0000000083DC: D86C5280 3A000004
	ds_read_b32 v59, v4 offset:21184                           // 0000000083E4: D86C52C0 3B000004
	ds_read_b32 v60, v4 offset:21248                           // 0000000083EC: D86C5300 3C000004
	ds_read_b32 v61, v4 offset:21312                           // 0000000083F4: D86C5340 3D000004
	ds_read_b32 v62, v4 offset:21376                           // 0000000083FC: D86C5380 3E000004
	ds_read_b32 v63, v4 offset:21440                           // 000000008404: D86C53C0 3F000004
	ds_read_b32 v64, v4 offset:21504                           // 00000000840C: D86C5400 40000004
	ds_read_b32 v65, v4 offset:21568                           // 000000008414: D86C5440 41000004
	ds_read_b32 v66, v4 offset:21632                           // 00000000841C: D86C5480 42000004
	ds_read_b32 v67, v4 offset:21696                           // 000000008424: D86C54C0 43000004
	ds_read_b32 v68, v4 offset:21760                           // 00000000842C: D86C5500 44000004
	ds_read_b32 v69, v4 offset:21824                           // 000000008434: D86C5540 45000004
	ds_read_b32 v70, v4 offset:21888                           // 00000000843C: D86C5580 46000004
	ds_read_b32 v71, v4 offset:21952                           // 000000008444: D86C55C0 47000004
	ds_read_b32 v72, v4 offset:22016                           // 00000000844C: D86C5600 48000004
	ds_read_b32 v73, v4 offset:22080                           // 000000008454: D86C5640 49000004
	s_waitcnt lgkmcnt(0)                                       // 00000000845C: BF8CC07F
	v_mov_b32_e32 v15, 0                                       // 000000008460: 7E1E0280
	v_add_f32_e32 v15, v58, v15                                // 000000008464: 021E1F3A
	v_add_f32_e32 v15, v59, v15                                // 000000008468: 021E1F3B
	v_add_f32_e32 v15, v60, v15                                // 00000000846C: 021E1F3C
	v_add_f32_e32 v15, v61, v15                                // 000000008470: 021E1F3D
	v_add_f32_e32 v15, v62, v15                                // 000000008474: 021E1F3E
	v_add_f32_e32 v15, v63, v15                                // 000000008478: 021E1F3F
	v_add_f32_e32 v15, v64, v15                                // 00000000847C: 021E1F40
	v_add_f32_e32 v15, v65, v15                                // 000000008480: 021E1F41
	v_add_f32_e32 v15, v66, v15                                // 000000008484: 021E1F42
	v_add_f32_e32 v15, v67, v15                                // 000000008488: 021E1F43
	v_add_f32_e32 v15, v68, v15                                // 00000000848C: 021E1F44
	v_add_f32_e32 v15, v69, v15                                // 000000008490: 021E1F45
	v_add_f32_e32 v15, v70, v15                                // 000000008494: 021E1F46
	v_add_f32_e32 v15, v71, v15                                // 000000008498: 021E1F47
	v_add_f32_e32 v15, v72, v15                                // 00000000849C: 021E1F48
	v_add_f32_e32 v15, v73, v15                                // 0000000084A0: 021E1F49
	v_mul_f32_e64 v34, v12, s64                                // 0000000084A4: D1050022 0000810C
	v_log_f32_e32 v35, v15                                     // 0000000084AC: 7E46430F
	s_nop 1                                                    // 0000000084B0: BF800001
	v_rcp_f32_e32 v15, v15                                     // 0000000084B4: 7E1E450F
	s_nop 1                                                    // 0000000084B8: BF800001
	v_fma_f32 v44, v35, s63, v34                               // 0000000084BC: D1CB002C 04887F23
	v_mul_f32_e32 v90, v15, v90                                // 0000000084C4: 0AB4B50F
	v_mul_f32_e32 v91, v15, v91                                // 0000000084C8: 0AB6B70F
	v_mul_f32_e32 v92, v15, v92                                // 0000000084CC: 0AB8B90F
	v_mul_f32_e32 v93, v15, v93                                // 0000000084D0: 0ABABB0F
	v_mul_f32_e32 v94, v15, v94                                // 0000000084D4: 0ABCBD0F
	v_mul_f32_e32 v95, v15, v95                                // 0000000084D8: 0ABEBF0F
	v_mul_f32_e32 v96, v15, v96                                // 0000000084DC: 0AC0C10F
	v_mul_f32_e32 v97, v15, v97                                // 0000000084E0: 0AC2C30F
	v_mul_f32_e32 v98, v15, v98                                // 0000000084E4: 0AC4C50F
	v_mul_f32_e32 v99, v15, v99                                // 0000000084E8: 0AC6C70F
	v_mul_f32_e32 v100, v15, v100                              // 0000000084EC: 0AC8C90F
	v_mul_f32_e32 v101, v15, v101                              // 0000000084F0: 0ACACB0F
	v_mul_f32_e32 v102, v15, v102                              // 0000000084F4: 0ACCCD0F
	v_mul_f32_e32 v103, v15, v103                              // 0000000084F8: 0ACECF0F
	v_mul_f32_e32 v104, v15, v104                              // 0000000084FC: 0AD0D10F
	v_mul_f32_e32 v105, v15, v105                              // 000000008500: 0AD2D30F
	v_mul_f32_e32 v106, v15, v106                              // 000000008504: 0AD4D50F
	v_mul_f32_e32 v107, v15, v107                              // 000000008508: 0AD6D70F
	v_mul_f32_e32 v108, v15, v108                              // 00000000850C: 0AD8D90F
	v_mul_f32_e32 v109, v15, v109                              // 000000008510: 0ADADB0F
	v_mul_f32_e32 v110, v15, v110                              // 000000008514: 0ADCDD0F
	v_mul_f32_e32 v111, v15, v111                              // 000000008518: 0ADEDF0F
	v_mul_f32_e32 v112, v15, v112                              // 00000000851C: 0AE0E10F
	v_mul_f32_e32 v113, v15, v113                              // 000000008520: 0AE2E30F
	v_mul_f32_e32 v114, v15, v114                              // 000000008524: 0AE4E50F
	v_mul_f32_e32 v115, v15, v115                              // 000000008528: 0AE6E70F
	v_mul_f32_e32 v116, v15, v116                              // 00000000852C: 0AE8E90F
	v_mul_f32_e32 v117, v15, v117                              // 000000008530: 0AEAEB0F
	v_mul_f32_e32 v118, v15, v118                              // 000000008534: 0AECED0F
	v_mul_f32_e32 v119, v15, v119                              // 000000008538: 0AEEEF0F
	v_mul_f32_e32 v120, v15, v120                              // 00000000853C: 0AF0F10F
	v_mul_f32_e32 v121, v15, v121                              // 000000008540: 0AF2F30F
	s_mov_b32 s56, 1                                           // 000000008544: BEB80081
	s_cmp_eq_i32 s56, s67                                      // 000000008548: BF004338
	s_cbranch_scc0 label_1C63                                  // 00000000854C: BF84038C
	s_waitcnt lgkmcnt(0)                                       // 000000008550: BF8CC07F
	s_barrier                                                  // 000000008554: BF8A0000
	v_lshlrev_b32_e32 v43, 1, v0                               // 000000008558: 24560081
	s_mul_i32 s56, s7, 0x410                                   // 00000000855C: 9238FF07 00000410
	v_add_u32_e32 v43, s56, v43                                // 000000008564: 68565638
	v_lshlrev_b32_e32 v43, 2, v43                              // 000000008568: 24565682
	v_mov_b32_e32 v58, v90                                     // 00000000856C: 7E74035A
	v_mov_b32_e32 v59, v94                                     // 000000008570: 7E76035E
	v_mov_b32_e32 v60, v98                                     // 000000008574: 7E780362
	v_mov_b32_e32 v61, v102                                    // 000000008578: 7E7A0366
	v_mul_f32_e32 v58, s41, v58                                // 00000000857C: 0A747429
	v_mul_f32_e32 v59, s41, v59                                // 000000008580: 0A767629
	v_mul_f32_e32 v60, s41, v60                                // 000000008584: 0A787829
	v_mul_f32_e32 v61, s41, v61                                // 000000008588: 0A7A7A29
	v_cmp_u_f32_e64 s[32:33], v58, v58                         // 00000000858C: D0480020 0002753A
	v_add3_u32 v30, v58, v33, 1                                // 000000008594: D1FF001E 0206433A
	v_cndmask_b32_e64 v34, v30, v32, s[32:33]                  // 00000000859C: D1000022 0082411E
	v_cmp_u_f32_e64 s[32:33], v59, v59                         // 0000000085A4: D0480020 0002773B
	v_add3_u32 v30, v59, v33, 1                                // 0000000085AC: D1FF001E 0206433B
	v_cndmask_b32_e64 v35, v30, v32, s[32:33]                  // 0000000085B4: D1000023 0082411E
	v_perm_b32 v58, v35, v34, s52                              // 0000000085BC: D1ED003A 00D24523
	v_cmp_u_f32_e64 s[32:33], v60, v60                         // 0000000085C4: D0480020 0002793C
	v_add3_u32 v30, v60, v33, 1                                // 0000000085CC: D1FF001E 0206433C
	v_cndmask_b32_e64 v34, v30, v32, s[32:33]                  // 0000000085D4: D1000022 0082411E
	v_cmp_u_f32_e64 s[32:33], v61, v61                         // 0000000085DC: D0480020 00027B3D
	v_add3_u32 v30, v61, v33, 1                                // 0000000085E4: D1FF001E 0206433D
	v_cndmask_b32_e64 v35, v30, v32, s[32:33]                  // 0000000085EC: D1000023 0082411E
	v_perm_b32 v59, v35, v34, s52                              // 0000000085F4: D1ED003B 00D24523
	ds_write_b64 v43, v[58:59]                                 // 0000000085FC: D89A0000 00003A2B
	v_mov_b32_e32 v58, v91                                     // 000000008604: 7E74035B
	v_mov_b32_e32 v59, v95                                     // 000000008608: 7E76035F
	v_mov_b32_e32 v60, v99                                     // 00000000860C: 7E780363
	v_mov_b32_e32 v61, v103                                    // 000000008610: 7E7A0367
	v_mul_f32_e32 v58, s41, v58                                // 000000008614: 0A747429
	v_mul_f32_e32 v59, s41, v59                                // 000000008618: 0A767629
	v_mul_f32_e32 v60, s41, v60                                // 00000000861C: 0A787829
	v_mul_f32_e32 v61, s41, v61                                // 000000008620: 0A7A7A29
	v_cmp_u_f32_e64 s[32:33], v58, v58                         // 000000008624: D0480020 0002753A
	v_add3_u32 v30, v58, v33, 1                                // 00000000862C: D1FF001E 0206433A
	v_cndmask_b32_e64 v34, v30, v32, s[32:33]                  // 000000008634: D1000022 0082411E
	v_cmp_u_f32_e64 s[32:33], v59, v59                         // 00000000863C: D0480020 0002773B
	v_add3_u32 v30, v59, v33, 1                                // 000000008644: D1FF001E 0206433B
	v_cndmask_b32_e64 v35, v30, v32, s[32:33]                  // 00000000864C: D1000023 0082411E
	v_perm_b32 v58, v35, v34, s52                              // 000000008654: D1ED003A 00D24523
	v_cmp_u_f32_e64 s[32:33], v60, v60                         // 00000000865C: D0480020 0002793C
	v_add3_u32 v30, v60, v33, 1                                // 000000008664: D1FF001E 0206433C
	v_cndmask_b32_e64 v34, v30, v32, s[32:33]                  // 00000000866C: D1000022 0082411E
	v_cmp_u_f32_e64 s[32:33], v61, v61                         // 000000008674: D0480020 00027B3D
	v_add3_u32 v30, v61, v33, 1                                // 00000000867C: D1FF001E 0206433D
	v_cndmask_b32_e64 v35, v30, v32, s[32:33]                  // 000000008684: D1000023 0082411E
	v_perm_b32 v59, v35, v34, s52                              // 00000000868C: D1ED003B 00D24523
	ds_write_b64 v43, v[58:59] offset:520                      // 000000008694: D89A0208 00003A2B
	v_mov_b32_e32 v58, v92                                     // 00000000869C: 7E74035C
	v_mov_b32_e32 v59, v96                                     // 0000000086A0: 7E760360
	v_mov_b32_e32 v60, v100                                    // 0000000086A4: 7E780364
	v_mov_b32_e32 v61, v104                                    // 0000000086A8: 7E7A0368
	v_mul_f32_e32 v58, s41, v58                                // 0000000086AC: 0A747429
	v_mul_f32_e32 v59, s41, v59                                // 0000000086B0: 0A767629
	v_mul_f32_e32 v60, s41, v60                                // 0000000086B4: 0A787829
	v_mul_f32_e32 v61, s41, v61                                // 0000000086B8: 0A7A7A29
	v_cmp_u_f32_e64 s[32:33], v58, v58                         // 0000000086BC: D0480020 0002753A
	v_add3_u32 v30, v58, v33, 1                                // 0000000086C4: D1FF001E 0206433A
	v_cndmask_b32_e64 v34, v30, v32, s[32:33]                  // 0000000086CC: D1000022 0082411E
	v_cmp_u_f32_e64 s[32:33], v59, v59                         // 0000000086D4: D0480020 0002773B
	v_add3_u32 v30, v59, v33, 1                                // 0000000086DC: D1FF001E 0206433B
	v_cndmask_b32_e64 v35, v30, v32, s[32:33]                  // 0000000086E4: D1000023 0082411E
	v_perm_b32 v58, v35, v34, s52                              // 0000000086EC: D1ED003A 00D24523
	v_cmp_u_f32_e64 s[32:33], v60, v60                         // 0000000086F4: D0480020 0002793C
	v_add3_u32 v30, v60, v33, 1                                // 0000000086FC: D1FF001E 0206433C
	v_cndmask_b32_e64 v34, v30, v32, s[32:33]                  // 000000008704: D1000022 0082411E
	v_cmp_u_f32_e64 s[32:33], v61, v61                         // 00000000870C: D0480020 00027B3D
	v_add3_u32 v30, v61, v33, 1                                // 000000008714: D1FF001E 0206433D
	v_cndmask_b32_e64 v35, v30, v32, s[32:33]                  // 00000000871C: D1000023 0082411E
	v_perm_b32 v59, v35, v34, s52                              // 000000008724: D1ED003B 00D24523
	ds_write_b64 v43, v[58:59] offset:1040                     // 00000000872C: D89A0410 00003A2B
	v_mov_b32_e32 v58, v93                                     // 000000008734: 7E74035D
	v_mov_b32_e32 v59, v97                                     // 000000008738: 7E760361
	v_mov_b32_e32 v60, v101                                    // 00000000873C: 7E780365
	v_mov_b32_e32 v61, v105                                    // 000000008740: 7E7A0369
	v_mul_f32_e32 v58, s41, v58                                // 000000008744: 0A747429
	v_mul_f32_e32 v59, s41, v59                                // 000000008748: 0A767629
	v_mul_f32_e32 v60, s41, v60                                // 00000000874C: 0A787829
	v_mul_f32_e32 v61, s41, v61                                // 000000008750: 0A7A7A29
	v_cmp_u_f32_e64 s[32:33], v58, v58                         // 000000008754: D0480020 0002753A
	v_add3_u32 v30, v58, v33, 1                                // 00000000875C: D1FF001E 0206433A
	v_cndmask_b32_e64 v34, v30, v32, s[32:33]                  // 000000008764: D1000022 0082411E
	v_cmp_u_f32_e64 s[32:33], v59, v59                         // 00000000876C: D0480020 0002773B
	v_add3_u32 v30, v59, v33, 1                                // 000000008774: D1FF001E 0206433B
	v_cndmask_b32_e64 v35, v30, v32, s[32:33]                  // 00000000877C: D1000023 0082411E
	v_perm_b32 v58, v35, v34, s52                              // 000000008784: D1ED003A 00D24523
	v_cmp_u_f32_e64 s[32:33], v60, v60                         // 00000000878C: D0480020 0002793C
	v_add3_u32 v30, v60, v33, 1                                // 000000008794: D1FF001E 0206433C
	v_cndmask_b32_e64 v34, v30, v32, s[32:33]                  // 00000000879C: D1000022 0082411E
	v_cmp_u_f32_e64 s[32:33], v61, v61                         // 0000000087A4: D0480020 00027B3D
	v_add3_u32 v30, v61, v33, 1                                // 0000000087AC: D1FF001E 0206433D
	v_cndmask_b32_e64 v35, v30, v32, s[32:33]                  // 0000000087B4: D1000023 0082411E
	v_perm_b32 v59, v35, v34, s52                              // 0000000087BC: D1ED003B 00D24523
	ds_write_b64 v43, v[58:59] offset:1560                     // 0000000087C4: D89A0618 00003A2B
	v_mov_b32_e32 v58, v106                                    // 0000000087CC: 7E74036A
	v_mov_b32_e32 v59, v110                                    // 0000000087D0: 7E76036E
	v_mov_b32_e32 v60, v114                                    // 0000000087D4: 7E780372
	v_mov_b32_e32 v61, v118                                    // 0000000087D8: 7E7A0376
	v_mul_f32_e32 v58, s41, v58                                // 0000000087DC: 0A747429
	v_mul_f32_e32 v59, s41, v59                                // 0000000087E0: 0A767629
	v_mul_f32_e32 v60, s41, v60                                // 0000000087E4: 0A787829
	v_mul_f32_e32 v61, s41, v61                                // 0000000087E8: 0A7A7A29
	v_cmp_u_f32_e64 s[32:33], v58, v58                         // 0000000087EC: D0480020 0002753A
	v_add3_u32 v30, v58, v33, 1                                // 0000000087F4: D1FF001E 0206433A
	v_cndmask_b32_e64 v34, v30, v32, s[32:33]                  // 0000000087FC: D1000022 0082411E
	v_cmp_u_f32_e64 s[32:33], v59, v59                         // 000000008804: D0480020 0002773B
	v_add3_u32 v30, v59, v33, 1                                // 00000000880C: D1FF001E 0206433B
	v_cndmask_b32_e64 v35, v30, v32, s[32:33]                  // 000000008814: D1000023 0082411E
	v_perm_b32 v58, v35, v34, s52                              // 00000000881C: D1ED003A 00D24523
	v_cmp_u_f32_e64 s[32:33], v60, v60                         // 000000008824: D0480020 0002793C
	v_add3_u32 v30, v60, v33, 1                                // 00000000882C: D1FF001E 0206433C
	v_cndmask_b32_e64 v34, v30, v32, s[32:33]                  // 000000008834: D1000022 0082411E
	v_cmp_u_f32_e64 s[32:33], v61, v61                         // 00000000883C: D0480020 00027B3D
	v_add3_u32 v30, v61, v33, 1                                // 000000008844: D1FF001E 0206433D
	v_cndmask_b32_e64 v35, v30, v32, s[32:33]                  // 00000000884C: D1000023 0082411E
	v_perm_b32 v59, v35, v34, s52                              // 000000008854: D1ED003B 00D24523
	ds_write_b64 v43, v[58:59] offset:2080                     // 00000000885C: D89A0820 00003A2B
	v_mov_b32_e32 v58, v107                                    // 000000008864: 7E74036B
	v_mov_b32_e32 v59, v111                                    // 000000008868: 7E76036F
	v_mov_b32_e32 v60, v115                                    // 00000000886C: 7E780373
	v_mov_b32_e32 v61, v119                                    // 000000008870: 7E7A0377
	v_mul_f32_e32 v58, s41, v58                                // 000000008874: 0A747429
	v_mul_f32_e32 v59, s41, v59                                // 000000008878: 0A767629
	v_mul_f32_e32 v60, s41, v60                                // 00000000887C: 0A787829
	v_mul_f32_e32 v61, s41, v61                                // 000000008880: 0A7A7A29
	v_cmp_u_f32_e64 s[32:33], v58, v58                         // 000000008884: D0480020 0002753A
	v_add3_u32 v30, v58, v33, 1                                // 00000000888C: D1FF001E 0206433A
	v_cndmask_b32_e64 v34, v30, v32, s[32:33]                  // 000000008894: D1000022 0082411E
	v_cmp_u_f32_e64 s[32:33], v59, v59                         // 00000000889C: D0480020 0002773B
	v_add3_u32 v30, v59, v33, 1                                // 0000000088A4: D1FF001E 0206433B
	v_cndmask_b32_e64 v35, v30, v32, s[32:33]                  // 0000000088AC: D1000023 0082411E
	v_perm_b32 v58, v35, v34, s52                              // 0000000088B4: D1ED003A 00D24523
	v_cmp_u_f32_e64 s[32:33], v60, v60                         // 0000000088BC: D0480020 0002793C
	v_add3_u32 v30, v60, v33, 1                                // 0000000088C4: D1FF001E 0206433C
	v_cndmask_b32_e64 v34, v30, v32, s[32:33]                  // 0000000088CC: D1000022 0082411E
	v_cmp_u_f32_e64 s[32:33], v61, v61                         // 0000000088D4: D0480020 00027B3D
	v_add3_u32 v30, v61, v33, 1                                // 0000000088DC: D1FF001E 0206433D
	v_cndmask_b32_e64 v35, v30, v32, s[32:33]                  // 0000000088E4: D1000023 0082411E
	v_perm_b32 v59, v35, v34, s52                              // 0000000088EC: D1ED003B 00D24523
	ds_write_b64 v43, v[58:59] offset:2600                     // 0000000088F4: D89A0A28 00003A2B
	v_mov_b32_e32 v58, v108                                    // 0000000088FC: 7E74036C
	v_mov_b32_e32 v59, v112                                    // 000000008900: 7E760370
	v_mov_b32_e32 v60, v116                                    // 000000008904: 7E780374
	v_mov_b32_e32 v61, v120                                    // 000000008908: 7E7A0378
	v_mul_f32_e32 v58, s41, v58                                // 00000000890C: 0A747429
	v_mul_f32_e32 v59, s41, v59                                // 000000008910: 0A767629
	v_mul_f32_e32 v60, s41, v60                                // 000000008914: 0A787829
	v_mul_f32_e32 v61, s41, v61                                // 000000008918: 0A7A7A29
	v_cmp_u_f32_e64 s[32:33], v58, v58                         // 00000000891C: D0480020 0002753A
	v_add3_u32 v30, v58, v33, 1                                // 000000008924: D1FF001E 0206433A
	v_cndmask_b32_e64 v34, v30, v32, s[32:33]                  // 00000000892C: D1000022 0082411E
	v_cmp_u_f32_e64 s[32:33], v59, v59                         // 000000008934: D0480020 0002773B
	v_add3_u32 v30, v59, v33, 1                                // 00000000893C: D1FF001E 0206433B
	v_cndmask_b32_e64 v35, v30, v32, s[32:33]                  // 000000008944: D1000023 0082411E
	v_perm_b32 v58, v35, v34, s52                              // 00000000894C: D1ED003A 00D24523
	v_cmp_u_f32_e64 s[32:33], v60, v60                         // 000000008954: D0480020 0002793C
	v_add3_u32 v30, v60, v33, 1                                // 00000000895C: D1FF001E 0206433C
	v_cndmask_b32_e64 v34, v30, v32, s[32:33]                  // 000000008964: D1000022 0082411E
	v_cmp_u_f32_e64 s[32:33], v61, v61                         // 00000000896C: D0480020 00027B3D
	v_add3_u32 v30, v61, v33, 1                                // 000000008974: D1FF001E 0206433D
	v_cndmask_b32_e64 v35, v30, v32, s[32:33]                  // 00000000897C: D1000023 0082411E
	v_perm_b32 v59, v35, v34, s52                              // 000000008984: D1ED003B 00D24523
	ds_write_b64 v43, v[58:59] offset:3120                     // 00000000898C: D89A0C30 00003A2B
	v_mov_b32_e32 v58, v109                                    // 000000008994: 7E74036D
	v_mov_b32_e32 v59, v113                                    // 000000008998: 7E760371
	v_mov_b32_e32 v60, v117                                    // 00000000899C: 7E780375
	v_mov_b32_e32 v61, v121                                    // 0000000089A0: 7E7A0379
	v_mul_f32_e32 v58, s41, v58                                // 0000000089A4: 0A747429
	v_mul_f32_e32 v59, s41, v59                                // 0000000089A8: 0A767629
	v_mul_f32_e32 v60, s41, v60                                // 0000000089AC: 0A787829
	v_mul_f32_e32 v61, s41, v61                                // 0000000089B0: 0A7A7A29
	v_cmp_u_f32_e64 s[32:33], v58, v58                         // 0000000089B4: D0480020 0002753A
	v_add3_u32 v30, v58, v33, 1                                // 0000000089BC: D1FF001E 0206433A
	v_cndmask_b32_e64 v34, v30, v32, s[32:33]                  // 0000000089C4: D1000022 0082411E
	v_cmp_u_f32_e64 s[32:33], v59, v59                         // 0000000089CC: D0480020 0002773B
	v_add3_u32 v30, v59, v33, 1                                // 0000000089D4: D1FF001E 0206433B
	v_cndmask_b32_e64 v35, v30, v32, s[32:33]                  // 0000000089DC: D1000023 0082411E
	v_perm_b32 v58, v35, v34, s52                              // 0000000089E4: D1ED003A 00D24523
	v_cmp_u_f32_e64 s[32:33], v60, v60                         // 0000000089EC: D0480020 0002793C
	v_add3_u32 v30, v60, v33, 1                                // 0000000089F4: D1FF001E 0206433C
	v_cndmask_b32_e64 v34, v30, v32, s[32:33]                  // 0000000089FC: D1000022 0082411E
	v_cmp_u_f32_e64 s[32:33], v61, v61                         // 000000008A04: D0480020 00027B3D
	v_add3_u32 v30, v61, v33, 1                                // 000000008A0C: D1FF001E 0206433D
	v_cndmask_b32_e64 v35, v30, v32, s[32:33]                  // 000000008A14: D1000023 0082411E
	v_perm_b32 v59, v35, v34, s52                              // 000000008A1C: D1ED003B 00D24523
	ds_write_b64 v43, v[58:59] offset:3640                     // 000000008A24: D89A0E38 00003A2B
	v_mov_b32_e32 v34, 0                                       // 000000008A2C: 7E440280
	v_mov_b32_e32 v35, 4                                       // 000000008A30: 7E460284
	s_mov_b32 s56, 0xffff0000                                  // 000000008A34: BEB800FF FFFF0000
	s_mov_b32 s57, 0xffff0000                                  // 000000008A3C: BEB900FF FFFF0000
	v_cndmask_b32_e64 v36, v34, v35, s[56:57]                  // 000000008A44: D1000024 00E24722
	v_and_b32_e32 v34, 3, v0                                   // 000000008A4C: 26440083
	v_add_u32_e32 v34, v34, v36                                // 000000008A50: 68444922
	s_mov_b32 s56, 0x82                                        // 000000008A54: BEB800FF 00000082
	v_mul_i32_i24_e32 v34, s56, v34                            // 000000008A5C: 0C444438
	v_and_b32_e32 v35, 15, v0                                  // 000000008A60: 2646008F
	v_lshrrev_b32_e32 v35, 2, v35                              // 000000008A64: 20464682
	s_mov_b32 s56, 32                                          // 000000008A68: BEB800A0
	v_mul_i32_i24_e32 v35, s56, v35                            // 000000008A6C: 0C464638
	v_lshrrev_b32_e32 v36, 5, v0                               // 000000008A70: 20480085
	v_lshlrev_b32_e32 v36, 1, v36                              // 000000008A74: 24484881
	v_add_u32_e32 v43, v34, v35                                // 000000008A78: 68564722
	v_add_u32_e32 v43, v43, v36                                // 000000008A7C: 6856492B
	s_mul_i32 s56, s7, 0x410                                   // 000000008A80: 9238FF07 00000410
	v_add_u32_e32 v43, s56, v43                                // 000000008A88: 68565638
	v_lshlrev_b32_e32 v43, 2, v43                              // 000000008A8C: 24565682
	s_waitcnt lgkmcnt(0)                                       // 000000008A90: BF8CC07F
	ds_read_b64 v[90:91], v43                                  // 000000008A94: D8EC0000 5A00002B
	ds_read_b64 v[92:93], v43 offset:16                        // 000000008A9C: D8EC0010 5C00002B
	ds_read_b64 v[94:95], v43 offset:32                        // 000000008AA4: D8EC0020 5E00002B
	ds_read_b64 v[96:97], v43 offset:48                        // 000000008AAC: D8EC0030 6000002B
	ds_read_b64 v[98:99], v43 offset:64                        // 000000008AB4: D8EC0040 6200002B
	ds_read_b64 v[100:101], v43 offset:80                      // 000000008ABC: D8EC0050 6400002B
	ds_read_b64 v[102:103], v43 offset:96                      // 000000008AC4: D8EC0060 6600002B
	ds_read_b64 v[104:105], v43 offset:112                     // 000000008ACC: D8EC0070 6800002B
	s_mul_i32 s75, 0x400, 16                                   // 000000008AD4: 924B90FF 00000400
	s_mul_i32 s56, s67, s75                                    // 000000008ADC: 92384B43
	s_mul_i32 s57, s81, s56                                    // 000000008AE0: 92393851
	s_mul_i32 s56, s3, s57                                     // 000000008AE4: 92383903
	s_mul_i32 s57, s4, s75                                     // 000000008AE8: 92394B04
	s_add_u32 s56, s56, s57                                    // 000000008AEC: 80383938
	s_add_u32 s8, s56, s8                                      // 000000008AF0: 80080838
	s_addc_u32 s9, 0, s9                                       // 000000008AF4: 82090980
	s_mov_b32 s10, s75                                         // 000000008AF8: BE8A004B
	s_mul_i32 s56, s7, 0x100                                   // 000000008AFC: 9238FF07 00000100
	v_lshrrev_b32_e32 v34, 5, v0                               // 000000008B04: 20440085
	s_mov_b32 s57, 0x400                                       // 000000008B08: BEB900FF 00000400
	v_mul_i32_i24_e32 v34, s57, v34                            // 000000008B10: 0C444439
	v_and_b32_e32 v19, 31, v0                                  // 000000008B14: 2626009F
	v_lshlrev_b32_e32 v19, 3, v19                              // 000000008B18: 24262683
	v_add_u32_e32 v19, v19, v34                                // 000000008B1C: 68264513
	v_add_u32_e64 v19, v19, s56                                // 000000008B20: D1340013 00007113
	v_mov_b32_e32 v51, v19                                     // 000000008B28: 7E660313
	v_mov_b32_e32 v19, v51                                     // 000000008B2C: 7E260333
	s_waitcnt lgkmcnt(7)                                       // 000000008B30: BF8CC77F
	buffer_store_dwordx2 v[90:91], v19, s[8:11], 0 offen       // 000000008B34: E0741000 80025A13
	v_add_u32_e32 v19, 0x800, v19                              // 000000008B3C: 682626FF 00000800
	s_waitcnt lgkmcnt(6)                                       // 000000008B44: BF8CC67F
	buffer_store_dwordx2 v[92:93], v19, s[8:11], 0 offen       // 000000008B48: E0741000 80025C13
	v_add_u32_e32 v19, 0x800, v19                              // 000000008B50: 682626FF 00000800
	s_waitcnt lgkmcnt(5)                                       // 000000008B58: BF8CC57F
	buffer_store_dwordx2 v[94:95], v19, s[8:11], 0 offen       // 000000008B5C: E0741000 80025E13
	v_add_u32_e32 v19, 0x800, v19                              // 000000008B64: 682626FF 00000800
	s_waitcnt lgkmcnt(4)                                       // 000000008B6C: BF8CC47F
	buffer_store_dwordx2 v[96:97], v19, s[8:11], 0 offen       // 000000008B70: E0741000 80026013
	v_add_u32_e32 v19, 0x800, v19                              // 000000008B78: 682626FF 00000800
	s_waitcnt lgkmcnt(3)                                       // 000000008B80: BF8CC37F
	buffer_store_dwordx2 v[98:99], v19, s[8:11], 0 offen       // 000000008B84: E0741000 80026213
	v_add_u32_e32 v19, 0x800, v19                              // 000000008B8C: 682626FF 00000800
	s_waitcnt lgkmcnt(2)                                       // 000000008B94: BF8CC27F
	buffer_store_dwordx2 v[100:101], v19, s[8:11], 0 offen     // 000000008B98: E0741000 80026413
	v_add_u32_e32 v19, 0x800, v19                              // 000000008BA0: 682626FF 00000800
	s_waitcnt lgkmcnt(1)                                       // 000000008BA8: BF8CC17F
	buffer_store_dwordx2 v[102:103], v19, s[8:11], 0 offen     // 000000008BAC: E0741000 80026613
	v_add_u32_e32 v19, 0x800, v19                              // 000000008BB4: 682626FF 00000800
	s_waitcnt lgkmcnt(0)                                       // 000000008BBC: BF8CC07F
	buffer_store_dwordx2 v[104:105], v19, s[8:11], 0 offen     // 000000008BC0: E0741000 80026813
	v_add_u32_e32 v19, 0x800, v19                              // 000000008BC8: 682626FF 00000800
	s_mul_i32 s56, s67, s75                                    // 000000008BD0: 92384B43
	s_add_u32 s8, s56, s8                                      // 000000008BD4: 80080838
	s_addc_u32 s9, 0, s9                                       // 000000008BD8: 82090980
	ds_write_b32 v5, v16 offset:21120                          // 000000008BDC: D81A5280 00001005
	s_waitcnt lgkmcnt(0)                                       // 000000008BE4: BF8CC07F
	s_barrier                                                  // 000000008BE8: BF8A0000
	ds_read_b32 v58, v4 offset:21120                           // 000000008BEC: D86C5280 3A000004
	ds_read_b32 v59, v4 offset:21184                           // 000000008BF4: D86C52C0 3B000004
	ds_read_b32 v60, v4 offset:21248                           // 000000008BFC: D86C5300 3C000004
	ds_read_b32 v61, v4 offset:21312                           // 000000008C04: D86C5340 3D000004
	ds_read_b32 v62, v4 offset:21376                           // 000000008C0C: D86C5380 3E000004
	ds_read_b32 v63, v4 offset:21440                           // 000000008C14: D86C53C0 3F000004
	ds_read_b32 v64, v4 offset:21504                           // 000000008C1C: D86C5400 40000004
	ds_read_b32 v65, v4 offset:21568                           // 000000008C24: D86C5440 41000004
	ds_read_b32 v66, v4 offset:21632                           // 000000008C2C: D86C5480 42000004
	ds_read_b32 v67, v4 offset:21696                           // 000000008C34: D86C54C0 43000004
	ds_read_b32 v68, v4 offset:21760                           // 000000008C3C: D86C5500 44000004
	ds_read_b32 v69, v4 offset:21824                           // 000000008C44: D86C5540 45000004
	ds_read_b32 v70, v4 offset:21888                           // 000000008C4C: D86C5580 46000004
	ds_read_b32 v71, v4 offset:21952                           // 000000008C54: D86C55C0 47000004
	ds_read_b32 v72, v4 offset:22016                           // 000000008C5C: D86C5600 48000004
	ds_read_b32 v73, v4 offset:22080                           // 000000008C64: D86C5640 49000004
	s_waitcnt lgkmcnt(0)                                       // 000000008C6C: BF8CC07F
	v_mov_b32_e32 v16, 0                                       // 000000008C70: 7E200280
	v_add_f32_e32 v16, v58, v16                                // 000000008C74: 0220213A
	v_add_f32_e32 v16, v59, v16                                // 000000008C78: 0220213B
	v_add_f32_e32 v16, v60, v16                                // 000000008C7C: 0220213C
	v_add_f32_e32 v16, v61, v16                                // 000000008C80: 0220213D
	v_add_f32_e32 v16, v62, v16                                // 000000008C84: 0220213E
	v_add_f32_e32 v16, v63, v16                                // 000000008C88: 0220213F
	v_add_f32_e32 v16, v64, v16                                // 000000008C8C: 02202140
	v_add_f32_e32 v16, v65, v16                                // 000000008C90: 02202141
	v_add_f32_e32 v16, v66, v16                                // 000000008C94: 02202142
	v_add_f32_e32 v16, v67, v16                                // 000000008C98: 02202143
	v_add_f32_e32 v16, v68, v16                                // 000000008C9C: 02202144
	v_add_f32_e32 v16, v69, v16                                // 000000008CA0: 02202145
	v_add_f32_e32 v16, v70, v16                                // 000000008CA4: 02202146
	v_add_f32_e32 v16, v71, v16                                // 000000008CA8: 02202147
	v_add_f32_e32 v16, v72, v16                                // 000000008CAC: 02202148
	v_add_f32_e32 v16, v73, v16                                // 000000008CB0: 02202149
	v_mul_f32_e64 v34, v13, s64                                // 000000008CB4: D1050022 0000810D
	v_log_f32_e32 v35, v16                                     // 000000008CBC: 7E464310
	s_nop 1                                                    // 000000008CC0: BF800001
	v_rcp_f32_e32 v16, v16                                     // 000000008CC4: 7E204510
	s_nop 1                                                    // 000000008CC8: BF800001
	v_fma_f32 v45, v35, s63, v34                               // 000000008CCC: D1CB002D 04887F23
	v_mul_f32_e32 v122, v16, v122                              // 000000008CD4: 0AF4F510
	v_mul_f32_e32 v123, v16, v123                              // 000000008CD8: 0AF6F710
	v_mul_f32_e32 v124, v16, v124                              // 000000008CDC: 0AF8F910
	v_mul_f32_e32 v125, v16, v125                              // 000000008CE0: 0AFAFB10
	v_mul_f32_e32 v126, v16, v126                              // 000000008CE4: 0AFCFD10
	v_mul_f32_e32 v127, v16, v127                              // 000000008CE8: 0AFEFF10
	v_mul_f32_e32 v128, v16, v128                              // 000000008CEC: 0B010110
	v_mul_f32_e32 v129, v16, v129                              // 000000008CF0: 0B030310
	v_mul_f32_e32 v130, v16, v130                              // 000000008CF4: 0B050510
	v_mul_f32_e32 v131, v16, v131                              // 000000008CF8: 0B070710
	v_mul_f32_e32 v132, v16, v132                              // 000000008CFC: 0B090910
	v_mul_f32_e32 v133, v16, v133                              // 000000008D00: 0B0B0B10
	v_mul_f32_e32 v134, v16, v134                              // 000000008D04: 0B0D0D10
	v_mul_f32_e32 v135, v16, v135                              // 000000008D08: 0B0F0F10
	v_mul_f32_e32 v136, v16, v136                              // 000000008D0C: 0B111110
	v_mul_f32_e32 v137, v16, v137                              // 000000008D10: 0B131310
	v_mul_f32_e32 v138, v16, v138                              // 000000008D14: 0B151510
	v_mul_f32_e32 v139, v16, v139                              // 000000008D18: 0B171710
	v_mul_f32_e32 v140, v16, v140                              // 000000008D1C: 0B191910
	v_mul_f32_e32 v141, v16, v141                              // 000000008D20: 0B1B1B10
	v_mul_f32_e32 v142, v16, v142                              // 000000008D24: 0B1D1D10
	v_mul_f32_e32 v143, v16, v143                              // 000000008D28: 0B1F1F10
	v_mul_f32_e32 v144, v16, v144                              // 000000008D2C: 0B212110
	v_mul_f32_e32 v145, v16, v145                              // 000000008D30: 0B232310
	v_mul_f32_e32 v146, v16, v146                              // 000000008D34: 0B252510
	v_mul_f32_e32 v147, v16, v147                              // 000000008D38: 0B272710
	v_mul_f32_e32 v148, v16, v148                              // 000000008D3C: 0B292910
	v_mul_f32_e32 v149, v16, v149                              // 000000008D40: 0B2B2B10
	v_mul_f32_e32 v150, v16, v150                              // 000000008D44: 0B2D2D10
	v_mul_f32_e32 v151, v16, v151                              // 000000008D48: 0B2F2F10
	v_mul_f32_e32 v152, v16, v152                              // 000000008D4C: 0B313110
	v_mul_f32_e32 v153, v16, v153                              // 000000008D50: 0B333310
	s_waitcnt lgkmcnt(0)                                       // 000000008D54: BF8CC07F
	s_barrier                                                  // 000000008D58: BF8A0000
	v_lshlrev_b32_e32 v43, 1, v0                               // 000000008D5C: 24560081
	s_mul_i32 s56, s7, 0x410                                   // 000000008D60: 9238FF07 00000410
	v_add_u32_e32 v43, s56, v43                                // 000000008D68: 68565638
	v_lshlrev_b32_e32 v43, 2, v43                              // 000000008D6C: 24565682
	v_mov_b32_e32 v58, v122                                    // 000000008D70: 7E74037A
	v_mov_b32_e32 v59, v126                                    // 000000008D74: 7E76037E
	v_mov_b32_e32 v60, v130                                    // 000000008D78: 7E780382
	v_mov_b32_e32 v61, v134                                    // 000000008D7C: 7E7A0386
	v_mul_f32_e32 v58, s41, v58                                // 000000008D80: 0A747429
	v_mul_f32_e32 v59, s41, v59                                // 000000008D84: 0A767629
	v_mul_f32_e32 v60, s41, v60                                // 000000008D88: 0A787829
	v_mul_f32_e32 v61, s41, v61                                // 000000008D8C: 0A7A7A29
	v_cmp_u_f32_e64 s[32:33], v58, v58                         // 000000008D90: D0480020 0002753A
	v_add3_u32 v30, v58, v33, 1                                // 000000008D98: D1FF001E 0206433A
	v_cndmask_b32_e64 v34, v30, v32, s[32:33]                  // 000000008DA0: D1000022 0082411E
	v_cmp_u_f32_e64 s[32:33], v59, v59                         // 000000008DA8: D0480020 0002773B
	v_add3_u32 v30, v59, v33, 1                                // 000000008DB0: D1FF001E 0206433B
	v_cndmask_b32_e64 v35, v30, v32, s[32:33]                  // 000000008DB8: D1000023 0082411E
	v_perm_b32 v58, v35, v34, s52                              // 000000008DC0: D1ED003A 00D24523
	v_cmp_u_f32_e64 s[32:33], v60, v60                         // 000000008DC8: D0480020 0002793C
	v_add3_u32 v30, v60, v33, 1                                // 000000008DD0: D1FF001E 0206433C
	v_cndmask_b32_e64 v34, v30, v32, s[32:33]                  // 000000008DD8: D1000022 0082411E
	v_cmp_u_f32_e64 s[32:33], v61, v61                         // 000000008DE0: D0480020 00027B3D
	v_add3_u32 v30, v61, v33, 1                                // 000000008DE8: D1FF001E 0206433D
	v_cndmask_b32_e64 v35, v30, v32, s[32:33]                  // 000000008DF0: D1000023 0082411E
	v_perm_b32 v59, v35, v34, s52                              // 000000008DF8: D1ED003B 00D24523
	ds_write_b64 v43, v[58:59]                                 // 000000008E00: D89A0000 00003A2B
	v_mov_b32_e32 v58, v123                                    // 000000008E08: 7E74037B
	v_mov_b32_e32 v59, v127                                    // 000000008E0C: 7E76037F
	v_mov_b32_e32 v60, v131                                    // 000000008E10: 7E780383
	v_mov_b32_e32 v61, v135                                    // 000000008E14: 7E7A0387
	v_mul_f32_e32 v58, s41, v58                                // 000000008E18: 0A747429
	v_mul_f32_e32 v59, s41, v59                                // 000000008E1C: 0A767629
	v_mul_f32_e32 v60, s41, v60                                // 000000008E20: 0A787829
	v_mul_f32_e32 v61, s41, v61                                // 000000008E24: 0A7A7A29
	v_cmp_u_f32_e64 s[32:33], v58, v58                         // 000000008E28: D0480020 0002753A
	v_add3_u32 v30, v58, v33, 1                                // 000000008E30: D1FF001E 0206433A
	v_cndmask_b32_e64 v34, v30, v32, s[32:33]                  // 000000008E38: D1000022 0082411E
	v_cmp_u_f32_e64 s[32:33], v59, v59                         // 000000008E40: D0480020 0002773B
	v_add3_u32 v30, v59, v33, 1                                // 000000008E48: D1FF001E 0206433B
	v_cndmask_b32_e64 v35, v30, v32, s[32:33]                  // 000000008E50: D1000023 0082411E
	v_perm_b32 v58, v35, v34, s52                              // 000000008E58: D1ED003A 00D24523
	v_cmp_u_f32_e64 s[32:33], v60, v60                         // 000000008E60: D0480020 0002793C
	v_add3_u32 v30, v60, v33, 1                                // 000000008E68: D1FF001E 0206433C
	v_cndmask_b32_e64 v34, v30, v32, s[32:33]                  // 000000008E70: D1000022 0082411E
	v_cmp_u_f32_e64 s[32:33], v61, v61                         // 000000008E78: D0480020 00027B3D
	v_add3_u32 v30, v61, v33, 1                                // 000000008E80: D1FF001E 0206433D
	v_cndmask_b32_e64 v35, v30, v32, s[32:33]                  // 000000008E88: D1000023 0082411E
	v_perm_b32 v59, v35, v34, s52                              // 000000008E90: D1ED003B 00D24523
	ds_write_b64 v43, v[58:59] offset:520                      // 000000008E98: D89A0208 00003A2B
	v_mov_b32_e32 v58, v124                                    // 000000008EA0: 7E74037C
	v_mov_b32_e32 v59, v128                                    // 000000008EA4: 7E760380
	v_mov_b32_e32 v60, v132                                    // 000000008EA8: 7E780384
	v_mov_b32_e32 v61, v136                                    // 000000008EAC: 7E7A0388
	v_mul_f32_e32 v58, s41, v58                                // 000000008EB0: 0A747429
	v_mul_f32_e32 v59, s41, v59                                // 000000008EB4: 0A767629
	v_mul_f32_e32 v60, s41, v60                                // 000000008EB8: 0A787829
	v_mul_f32_e32 v61, s41, v61                                // 000000008EBC: 0A7A7A29
	v_cmp_u_f32_e64 s[32:33], v58, v58                         // 000000008EC0: D0480020 0002753A
	v_add3_u32 v30, v58, v33, 1                                // 000000008EC8: D1FF001E 0206433A
	v_cndmask_b32_e64 v34, v30, v32, s[32:33]                  // 000000008ED0: D1000022 0082411E
	v_cmp_u_f32_e64 s[32:33], v59, v59                         // 000000008ED8: D0480020 0002773B
	v_add3_u32 v30, v59, v33, 1                                // 000000008EE0: D1FF001E 0206433B
	v_cndmask_b32_e64 v35, v30, v32, s[32:33]                  // 000000008EE8: D1000023 0082411E
	v_perm_b32 v58, v35, v34, s52                              // 000000008EF0: D1ED003A 00D24523
	v_cmp_u_f32_e64 s[32:33], v60, v60                         // 000000008EF8: D0480020 0002793C
	v_add3_u32 v30, v60, v33, 1                                // 000000008F00: D1FF001E 0206433C
	v_cndmask_b32_e64 v34, v30, v32, s[32:33]                  // 000000008F08: D1000022 0082411E
	v_cmp_u_f32_e64 s[32:33], v61, v61                         // 000000008F10: D0480020 00027B3D
	v_add3_u32 v30, v61, v33, 1                                // 000000008F18: D1FF001E 0206433D
	v_cndmask_b32_e64 v35, v30, v32, s[32:33]                  // 000000008F20: D1000023 0082411E
	v_perm_b32 v59, v35, v34, s52                              // 000000008F28: D1ED003B 00D24523
	ds_write_b64 v43, v[58:59] offset:1040                     // 000000008F30: D89A0410 00003A2B
	v_mov_b32_e32 v58, v125                                    // 000000008F38: 7E74037D
	v_mov_b32_e32 v59, v129                                    // 000000008F3C: 7E760381
	v_mov_b32_e32 v60, v133                                    // 000000008F40: 7E780385
	v_mov_b32_e32 v61, v137                                    // 000000008F44: 7E7A0389
	v_mul_f32_e32 v58, s41, v58                                // 000000008F48: 0A747429
	v_mul_f32_e32 v59, s41, v59                                // 000000008F4C: 0A767629
	v_mul_f32_e32 v60, s41, v60                                // 000000008F50: 0A787829
	v_mul_f32_e32 v61, s41, v61                                // 000000008F54: 0A7A7A29
	v_cmp_u_f32_e64 s[32:33], v58, v58                         // 000000008F58: D0480020 0002753A
	v_add3_u32 v30, v58, v33, 1                                // 000000008F60: D1FF001E 0206433A
	v_cndmask_b32_e64 v34, v30, v32, s[32:33]                  // 000000008F68: D1000022 0082411E
	v_cmp_u_f32_e64 s[32:33], v59, v59                         // 000000008F70: D0480020 0002773B
	v_add3_u32 v30, v59, v33, 1                                // 000000008F78: D1FF001E 0206433B
	v_cndmask_b32_e64 v35, v30, v32, s[32:33]                  // 000000008F80: D1000023 0082411E
	v_perm_b32 v58, v35, v34, s52                              // 000000008F88: D1ED003A 00D24523
	v_cmp_u_f32_e64 s[32:33], v60, v60                         // 000000008F90: D0480020 0002793C
	v_add3_u32 v30, v60, v33, 1                                // 000000008F98: D1FF001E 0206433C
	v_cndmask_b32_e64 v34, v30, v32, s[32:33]                  // 000000008FA0: D1000022 0082411E
	v_cmp_u_f32_e64 s[32:33], v61, v61                         // 000000008FA8: D0480020 00027B3D
	v_add3_u32 v30, v61, v33, 1                                // 000000008FB0: D1FF001E 0206433D
	v_cndmask_b32_e64 v35, v30, v32, s[32:33]                  // 000000008FB8: D1000023 0082411E
	v_perm_b32 v59, v35, v34, s52                              // 000000008FC0: D1ED003B 00D24523
	ds_write_b64 v43, v[58:59] offset:1560                     // 000000008FC8: D89A0618 00003A2B
	v_mov_b32_e32 v58, v138                                    // 000000008FD0: 7E74038A
	v_mov_b32_e32 v59, v142                                    // 000000008FD4: 7E76038E
	v_mov_b32_e32 v60, v146                                    // 000000008FD8: 7E780392
	v_mov_b32_e32 v61, v150                                    // 000000008FDC: 7E7A0396
	v_mul_f32_e32 v58, s41, v58                                // 000000008FE0: 0A747429
	v_mul_f32_e32 v59, s41, v59                                // 000000008FE4: 0A767629
	v_mul_f32_e32 v60, s41, v60                                // 000000008FE8: 0A787829
	v_mul_f32_e32 v61, s41, v61                                // 000000008FEC: 0A7A7A29
	v_cmp_u_f32_e64 s[32:33], v58, v58                         // 000000008FF0: D0480020 0002753A
	v_add3_u32 v30, v58, v33, 1                                // 000000008FF8: D1FF001E 0206433A
	v_cndmask_b32_e64 v34, v30, v32, s[32:33]                  // 000000009000: D1000022 0082411E
	v_cmp_u_f32_e64 s[32:33], v59, v59                         // 000000009008: D0480020 0002773B
	v_add3_u32 v30, v59, v33, 1                                // 000000009010: D1FF001E 0206433B
	v_cndmask_b32_e64 v35, v30, v32, s[32:33]                  // 000000009018: D1000023 0082411E
	v_perm_b32 v58, v35, v34, s52                              // 000000009020: D1ED003A 00D24523
	v_cmp_u_f32_e64 s[32:33], v60, v60                         // 000000009028: D0480020 0002793C
	v_add3_u32 v30, v60, v33, 1                                // 000000009030: D1FF001E 0206433C
	v_cndmask_b32_e64 v34, v30, v32, s[32:33]                  // 000000009038: D1000022 0082411E
	v_cmp_u_f32_e64 s[32:33], v61, v61                         // 000000009040: D0480020 00027B3D
	v_add3_u32 v30, v61, v33, 1                                // 000000009048: D1FF001E 0206433D
	v_cndmask_b32_e64 v35, v30, v32, s[32:33]                  // 000000009050: D1000023 0082411E
	v_perm_b32 v59, v35, v34, s52                              // 000000009058: D1ED003B 00D24523
	ds_write_b64 v43, v[58:59] offset:2080                     // 000000009060: D89A0820 00003A2B
	v_mov_b32_e32 v58, v139                                    // 000000009068: 7E74038B
	v_mov_b32_e32 v59, v143                                    // 00000000906C: 7E76038F
	v_mov_b32_e32 v60, v147                                    // 000000009070: 7E780393
	v_mov_b32_e32 v61, v151                                    // 000000009074: 7E7A0397
	v_mul_f32_e32 v58, s41, v58                                // 000000009078: 0A747429
	v_mul_f32_e32 v59, s41, v59                                // 00000000907C: 0A767629
	v_mul_f32_e32 v60, s41, v60                                // 000000009080: 0A787829
	v_mul_f32_e32 v61, s41, v61                                // 000000009084: 0A7A7A29
	v_cmp_u_f32_e64 s[32:33], v58, v58                         // 000000009088: D0480020 0002753A
	v_add3_u32 v30, v58, v33, 1                                // 000000009090: D1FF001E 0206433A
	v_cndmask_b32_e64 v34, v30, v32, s[32:33]                  // 000000009098: D1000022 0082411E
	v_cmp_u_f32_e64 s[32:33], v59, v59                         // 0000000090A0: D0480020 0002773B
	v_add3_u32 v30, v59, v33, 1                                // 0000000090A8: D1FF001E 0206433B
	v_cndmask_b32_e64 v35, v30, v32, s[32:33]                  // 0000000090B0: D1000023 0082411E
	v_perm_b32 v58, v35, v34, s52                              // 0000000090B8: D1ED003A 00D24523
	v_cmp_u_f32_e64 s[32:33], v60, v60                         // 0000000090C0: D0480020 0002793C
	v_add3_u32 v30, v60, v33, 1                                // 0000000090C8: D1FF001E 0206433C
	v_cndmask_b32_e64 v34, v30, v32, s[32:33]                  // 0000000090D0: D1000022 0082411E
	v_cmp_u_f32_e64 s[32:33], v61, v61                         // 0000000090D8: D0480020 00027B3D
	v_add3_u32 v30, v61, v33, 1                                // 0000000090E0: D1FF001E 0206433D
	v_cndmask_b32_e64 v35, v30, v32, s[32:33]                  // 0000000090E8: D1000023 0082411E
	v_perm_b32 v59, v35, v34, s52                              // 0000000090F0: D1ED003B 00D24523
	ds_write_b64 v43, v[58:59] offset:2600                     // 0000000090F8: D89A0A28 00003A2B
	v_mov_b32_e32 v58, v140                                    // 000000009100: 7E74038C
	v_mov_b32_e32 v59, v144                                    // 000000009104: 7E760390
	v_mov_b32_e32 v60, v148                                    // 000000009108: 7E780394
	v_mov_b32_e32 v61, v152                                    // 00000000910C: 7E7A0398
	v_mul_f32_e32 v58, s41, v58                                // 000000009110: 0A747429
	v_mul_f32_e32 v59, s41, v59                                // 000000009114: 0A767629
	v_mul_f32_e32 v60, s41, v60                                // 000000009118: 0A787829
	v_mul_f32_e32 v61, s41, v61                                // 00000000911C: 0A7A7A29
	v_cmp_u_f32_e64 s[32:33], v58, v58                         // 000000009120: D0480020 0002753A
	v_add3_u32 v30, v58, v33, 1                                // 000000009128: D1FF001E 0206433A
	v_cndmask_b32_e64 v34, v30, v32, s[32:33]                  // 000000009130: D1000022 0082411E
	v_cmp_u_f32_e64 s[32:33], v59, v59                         // 000000009138: D0480020 0002773B
	v_add3_u32 v30, v59, v33, 1                                // 000000009140: D1FF001E 0206433B
	v_cndmask_b32_e64 v35, v30, v32, s[32:33]                  // 000000009148: D1000023 0082411E
	v_perm_b32 v58, v35, v34, s52                              // 000000009150: D1ED003A 00D24523
	v_cmp_u_f32_e64 s[32:33], v60, v60                         // 000000009158: D0480020 0002793C
	v_add3_u32 v30, v60, v33, 1                                // 000000009160: D1FF001E 0206433C
	v_cndmask_b32_e64 v34, v30, v32, s[32:33]                  // 000000009168: D1000022 0082411E
	v_cmp_u_f32_e64 s[32:33], v61, v61                         // 000000009170: D0480020 00027B3D
	v_add3_u32 v30, v61, v33, 1                                // 000000009178: D1FF001E 0206433D
	v_cndmask_b32_e64 v35, v30, v32, s[32:33]                  // 000000009180: D1000023 0082411E
	v_perm_b32 v59, v35, v34, s52                              // 000000009188: D1ED003B 00D24523
	ds_write_b64 v43, v[58:59] offset:3120                     // 000000009190: D89A0C30 00003A2B
	v_mov_b32_e32 v58, v141                                    // 000000009198: 7E74038D
	v_mov_b32_e32 v59, v145                                    // 00000000919C: 7E760391
	v_mov_b32_e32 v60, v149                                    // 0000000091A0: 7E780395
	v_mov_b32_e32 v61, v153                                    // 0000000091A4: 7E7A0399
	v_mul_f32_e32 v58, s41, v58                                // 0000000091A8: 0A747429
	v_mul_f32_e32 v59, s41, v59                                // 0000000091AC: 0A767629
	v_mul_f32_e32 v60, s41, v60                                // 0000000091B0: 0A787829
	v_mul_f32_e32 v61, s41, v61                                // 0000000091B4: 0A7A7A29
	v_cmp_u_f32_e64 s[32:33], v58, v58                         // 0000000091B8: D0480020 0002753A
	v_add3_u32 v30, v58, v33, 1                                // 0000000091C0: D1FF001E 0206433A
	v_cndmask_b32_e64 v34, v30, v32, s[32:33]                  // 0000000091C8: D1000022 0082411E
	v_cmp_u_f32_e64 s[32:33], v59, v59                         // 0000000091D0: D0480020 0002773B
	v_add3_u32 v30, v59, v33, 1                                // 0000000091D8: D1FF001E 0206433B
	v_cndmask_b32_e64 v35, v30, v32, s[32:33]                  // 0000000091E0: D1000023 0082411E
	v_perm_b32 v58, v35, v34, s52                              // 0000000091E8: D1ED003A 00D24523
	v_cmp_u_f32_e64 s[32:33], v60, v60                         // 0000000091F0: D0480020 0002793C
	v_add3_u32 v30, v60, v33, 1                                // 0000000091F8: D1FF001E 0206433C
	v_cndmask_b32_e64 v34, v30, v32, s[32:33]                  // 000000009200: D1000022 0082411E
	v_cmp_u_f32_e64 s[32:33], v61, v61                         // 000000009208: D0480020 00027B3D
	v_add3_u32 v30, v61, v33, 1                                // 000000009210: D1FF001E 0206433D
	v_cndmask_b32_e64 v35, v30, v32, s[32:33]                  // 000000009218: D1000023 0082411E
	v_perm_b32 v59, v35, v34, s52                              // 000000009220: D1ED003B 00D24523
	ds_write_b64 v43, v[58:59] offset:3640                     // 000000009228: D89A0E38 00003A2B
	v_mov_b32_e32 v34, 0                                       // 000000009230: 7E440280
	v_mov_b32_e32 v35, 4                                       // 000000009234: 7E460284
	s_mov_b32 s56, 0xffff0000                                  // 000000009238: BEB800FF FFFF0000
	s_mov_b32 s57, 0xffff0000                                  // 000000009240: BEB900FF FFFF0000
	v_cndmask_b32_e64 v36, v34, v35, s[56:57]                  // 000000009248: D1000024 00E24722
	v_and_b32_e32 v34, 3, v0                                   // 000000009250: 26440083
	v_add_u32_e32 v34, v34, v36                                // 000000009254: 68444922
	s_mov_b32 s56, 0x82                                        // 000000009258: BEB800FF 00000082
	v_mul_i32_i24_e32 v34, s56, v34                            // 000000009260: 0C444438
	v_and_b32_e32 v35, 15, v0                                  // 000000009264: 2646008F
	v_lshrrev_b32_e32 v35, 2, v35                              // 000000009268: 20464682
	s_mov_b32 s56, 32                                          // 00000000926C: BEB800A0
	v_mul_i32_i24_e32 v35, s56, v35                            // 000000009270: 0C464638
	v_lshrrev_b32_e32 v36, 5, v0                               // 000000009274: 20480085
	v_lshlrev_b32_e32 v36, 1, v36                              // 000000009278: 24484881
	v_add_u32_e32 v43, v34, v35                                // 00000000927C: 68564722
	v_add_u32_e32 v43, v43, v36                                // 000000009280: 6856492B
	s_mul_i32 s56, s7, 0x410                                   // 000000009284: 9238FF07 00000410
	v_add_u32_e32 v43, s56, v43                                // 00000000928C: 68565638
	v_lshlrev_b32_e32 v43, 2, v43                              // 000000009290: 24565682
	s_waitcnt lgkmcnt(0)                                       // 000000009294: BF8CC07F
	ds_read_b64 v[122:123], v43                                // 000000009298: D8EC0000 7A00002B
	ds_read_b64 v[124:125], v43 offset:16                      // 0000000092A0: D8EC0010 7C00002B
	ds_read_b64 v[126:127], v43 offset:32                      // 0000000092A8: D8EC0020 7E00002B
	ds_read_b64 v[128:129], v43 offset:48                      // 0000000092B0: D8EC0030 8000002B
	ds_read_b64 v[130:131], v43 offset:64                      // 0000000092B8: D8EC0040 8200002B
	ds_read_b64 v[132:133], v43 offset:80                      // 0000000092C0: D8EC0050 8400002B
	ds_read_b64 v[134:135], v43 offset:96                      // 0000000092C8: D8EC0060 8600002B
	ds_read_b64 v[136:137], v43 offset:112                     // 0000000092D0: D8EC0070 8800002B
	v_mov_b32_e32 v19, v51                                     // 0000000092D8: 7E260333
	s_waitcnt lgkmcnt(7)                                       // 0000000092DC: BF8CC77F
	buffer_store_dwordx2 v[122:123], v19, s[8:11], 0 offen     // 0000000092E0: E0741000 80027A13
	v_add_u32_e32 v19, 0x800, v19                              // 0000000092E8: 682626FF 00000800
	s_waitcnt lgkmcnt(6)                                       // 0000000092F0: BF8CC67F
	buffer_store_dwordx2 v[124:125], v19, s[8:11], 0 offen     // 0000000092F4: E0741000 80027C13
	v_add_u32_e32 v19, 0x800, v19                              // 0000000092FC: 682626FF 00000800
	s_waitcnt lgkmcnt(5)                                       // 000000009304: BF8CC57F
	buffer_store_dwordx2 v[126:127], v19, s[8:11], 0 offen     // 000000009308: E0741000 80027E13
	v_add_u32_e32 v19, 0x800, v19                              // 000000009310: 682626FF 00000800
	s_waitcnt lgkmcnt(4)                                       // 000000009318: BF8CC47F
	buffer_store_dwordx2 v[128:129], v19, s[8:11], 0 offen     // 00000000931C: E0741000 80028013
	v_add_u32_e32 v19, 0x800, v19                              // 000000009324: 682626FF 00000800
	s_waitcnt lgkmcnt(3)                                       // 00000000932C: BF8CC37F
	buffer_store_dwordx2 v[130:131], v19, s[8:11], 0 offen     // 000000009330: E0741000 80028213
	v_add_u32_e32 v19, 0x800, v19                              // 000000009338: 682626FF 00000800
	s_waitcnt lgkmcnt(2)                                       // 000000009340: BF8CC27F
	buffer_store_dwordx2 v[132:133], v19, s[8:11], 0 offen     // 000000009344: E0741000 80028413
	v_add_u32_e32 v19, 0x800, v19                              // 00000000934C: 682626FF 00000800
	s_waitcnt lgkmcnt(1)                                       // 000000009354: BF8CC17F
	buffer_store_dwordx2 v[134:135], v19, s[8:11], 0 offen     // 000000009358: E0741000 80028613
	v_add_u32_e32 v19, 0x800, v19                              // 000000009360: 682626FF 00000800
	s_waitcnt lgkmcnt(0)                                       // 000000009368: BF8CC07F
	buffer_store_dwordx2 v[136:137], v19, s[8:11], 0 offen     // 00000000936C: E0741000 80028813
	v_add_u32_e32 v19, 0x800, v19                              // 000000009374: 682626FF 00000800
	s_branch label_1E37                                        // 00000000937C: BF8201D4

0000000000009380 <label_1C63>:
	s_waitcnt lgkmcnt(0)                                       // 000000009380: BF8CC07F
	s_barrier                                                  // 000000009384: BF8A0000
	v_lshlrev_b32_e32 v43, 2, v0                               // 000000009388: 24560082
	s_mul_i32 s56, s7, 0x820                                   // 00000000938C: 9238FF07 00000820
	v_add_u32_e32 v43, s56, v43                                // 000000009394: 68565638
	v_lshlrev_b32_e32 v43, 2, v43                              // 000000009398: 24565682
	v_mov_b32_e32 v34, v90                                     // 00000000939C: 7E44035A
	v_mov_b32_e32 v35, v94                                     // 0000000093A0: 7E46035E
	v_mov_b32_e32 v36, v98                                     // 0000000093A4: 7E480362
	v_mov_b32_e32 v37, v102                                    // 0000000093A8: 7E4A0366
	v_mul_f32_e32 v34, s41, v34                                // 0000000093AC: 0A444429
	v_mul_f32_e32 v35, s41, v35                                // 0000000093B0: 0A464629
	v_mul_f32_e32 v36, s41, v36                                // 0000000093B4: 0A484829
	v_mul_f32_e32 v37, s41, v37                                // 0000000093B8: 0A4A4A29
	ds_write_b128 v43, v[34:37]                                // 0000000093BC: D9BE0000 0000222B
	v_mov_b32_e32 v34, v91                                     // 0000000093C4: 7E44035B
	v_mov_b32_e32 v35, v95                                     // 0000000093C8: 7E46035F
	v_mov_b32_e32 v36, v99                                     // 0000000093CC: 7E480363
	v_mov_b32_e32 v37, v103                                    // 0000000093D0: 7E4A0367
	v_mul_f32_e32 v34, s41, v34                                // 0000000093D4: 0A444429
	v_mul_f32_e32 v35, s41, v35                                // 0000000093D8: 0A464629
	v_mul_f32_e32 v36, s41, v36                                // 0000000093DC: 0A484829
	v_mul_f32_e32 v37, s41, v37                                // 0000000093E0: 0A4A4A29
	ds_write_b128 v43, v[34:37] offset:1040                    // 0000000093E4: D9BE0410 0000222B
	v_mov_b32_e32 v34, v92                                     // 0000000093EC: 7E44035C
	v_mov_b32_e32 v35, v96                                     // 0000000093F0: 7E460360
	v_mov_b32_e32 v36, v100                                    // 0000000093F4: 7E480364
	v_mov_b32_e32 v37, v104                                    // 0000000093F8: 7E4A0368
	v_mul_f32_e32 v34, s41, v34                                // 0000000093FC: 0A444429
	v_mul_f32_e32 v35, s41, v35                                // 000000009400: 0A464629
	v_mul_f32_e32 v36, s41, v36                                // 000000009404: 0A484829
	v_mul_f32_e32 v37, s41, v37                                // 000000009408: 0A4A4A29
	ds_write_b128 v43, v[34:37] offset:2080                    // 00000000940C: D9BE0820 0000222B
	v_mov_b32_e32 v34, v93                                     // 000000009414: 7E44035D
	v_mov_b32_e32 v35, v97                                     // 000000009418: 7E460361
	v_mov_b32_e32 v36, v101                                    // 00000000941C: 7E480365
	v_mov_b32_e32 v37, v105                                    // 000000009420: 7E4A0369
	v_mul_f32_e32 v34, s41, v34                                // 000000009424: 0A444429
	v_mul_f32_e32 v35, s41, v35                                // 000000009428: 0A464629
	v_mul_f32_e32 v36, s41, v36                                // 00000000942C: 0A484829
	v_mul_f32_e32 v37, s41, v37                                // 000000009430: 0A4A4A29
	ds_write_b128 v43, v[34:37] offset:3120                    // 000000009434: D9BE0C30 0000222B
	v_mov_b32_e32 v34, v106                                    // 00000000943C: 7E44036A
	v_mov_b32_e32 v35, v110                                    // 000000009440: 7E46036E
	v_mov_b32_e32 v36, v114                                    // 000000009444: 7E480372
	v_mov_b32_e32 v37, v118                                    // 000000009448: 7E4A0376
	v_mul_f32_e32 v34, s41, v34                                // 00000000944C: 0A444429
	v_mul_f32_e32 v35, s41, v35                                // 000000009450: 0A464629
	v_mul_f32_e32 v36, s41, v36                                // 000000009454: 0A484829
	v_mul_f32_e32 v37, s41, v37                                // 000000009458: 0A4A4A29
	ds_write_b128 v43, v[34:37] offset:4160                    // 00000000945C: D9BE1040 0000222B
	v_mov_b32_e32 v34, v107                                    // 000000009464: 7E44036B
	v_mov_b32_e32 v35, v111                                    // 000000009468: 7E46036F
	v_mov_b32_e32 v36, v115                                    // 00000000946C: 7E480373
	v_mov_b32_e32 v37, v119                                    // 000000009470: 7E4A0377
	v_mul_f32_e32 v34, s41, v34                                // 000000009474: 0A444429
	v_mul_f32_e32 v35, s41, v35                                // 000000009478: 0A464629
	v_mul_f32_e32 v36, s41, v36                                // 00000000947C: 0A484829
	v_mul_f32_e32 v37, s41, v37                                // 000000009480: 0A4A4A29
	ds_write_b128 v43, v[34:37] offset:5200                    // 000000009484: D9BE1450 0000222B
	v_mov_b32_e32 v34, v108                                    // 00000000948C: 7E44036C
	v_mov_b32_e32 v35, v112                                    // 000000009490: 7E460370
	v_mov_b32_e32 v36, v116                                    // 000000009494: 7E480374
	v_mov_b32_e32 v37, v120                                    // 000000009498: 7E4A0378
	v_mul_f32_e32 v34, s41, v34                                // 00000000949C: 0A444429
	v_mul_f32_e32 v35, s41, v35                                // 0000000094A0: 0A464629
	v_mul_f32_e32 v36, s41, v36                                // 0000000094A4: 0A484829
	v_mul_f32_e32 v37, s41, v37                                // 0000000094A8: 0A4A4A29
	ds_write_b128 v43, v[34:37] offset:6240                    // 0000000094AC: D9BE1860 0000222B
	v_mov_b32_e32 v34, v109                                    // 0000000094B4: 7E44036D
	v_mov_b32_e32 v35, v113                                    // 0000000094B8: 7E460371
	v_mov_b32_e32 v36, v117                                    // 0000000094BC: 7E480375
	v_mov_b32_e32 v37, v121                                    // 0000000094C0: 7E4A0379
	v_mul_f32_e32 v34, s41, v34                                // 0000000094C4: 0A444429
	v_mul_f32_e32 v35, s41, v35                                // 0000000094C8: 0A464629
	v_mul_f32_e32 v36, s41, v36                                // 0000000094CC: 0A484829
	v_mul_f32_e32 v37, s41, v37                                // 0000000094D0: 0A4A4A29
	ds_write_b128 v43, v[34:37] offset:7280                    // 0000000094D4: D9BE1C70 0000222B
	v_mov_b32_e32 v34, 0                                       // 0000000094DC: 7E440280
	v_mov_b32_e32 v35, 4                                       // 0000000094E0: 7E460284
	s_mov_b32 s56, 0xffff0000                                  // 0000000094E4: BEB800FF FFFF0000
	s_mov_b32 s57, 0xffff0000                                  // 0000000094EC: BEB900FF FFFF0000
	v_cndmask_b32_e64 v36, v34, v35, s[56:57]                  // 0000000094F4: D1000024 00E24722
	v_and_b32_e32 v34, 3, v0                                   // 0000000094FC: 26440083
	v_add_u32_e32 v34, v34, v36                                // 000000009500: 68444922
	s_mov_b32 s56, 0x104                                       // 000000009504: BEB800FF 00000104
	v_mul_i32_i24_e32 v34, s56, v34                            // 00000000950C: 0C444438
	v_and_b32_e32 v35, 15, v0                                  // 000000009510: 2646008F
	v_lshrrev_b32_e32 v35, 2, v35                              // 000000009514: 20464682
	s_mov_b32 s56, 64                                          // 000000009518: BEB800C0
	v_mul_i32_i24_e32 v35, s56, v35                            // 00000000951C: 0C464638
	v_lshrrev_b32_e32 v36, 5, v0                               // 000000009520: 20480085
	v_lshlrev_b32_e32 v36, 2, v36                              // 000000009524: 24484882
	v_add_u32_e32 v43, v34, v35                                // 000000009528: 68564722
	v_add_u32_e32 v43, v43, v36                                // 00000000952C: 6856492B
	s_mul_i32 s56, s7, 0x820                                   // 000000009530: 9238FF07 00000820
	v_add_u32_e32 v43, s56, v43                                // 000000009538: 68565638
	v_lshlrev_b32_e32 v43, 2, v43                              // 00000000953C: 24565682
	s_waitcnt lgkmcnt(0)                                       // 000000009540: BF8CC07F
	ds_read_b128 v[90:93], v43                                 // 000000009544: D9FE0000 5A00002B
	ds_read_b128 v[94:97], v43 offset:32                       // 00000000954C: D9FE0020 5E00002B
	ds_read_b128 v[98:101], v43 offset:64                      // 000000009554: D9FE0040 6200002B
	ds_read_b128 v[102:105], v43 offset:96                     // 00000000955C: D9FE0060 6600002B
	ds_read_b128 v[106:109], v43 offset:128                    // 000000009564: D9FE0080 6A00002B
	ds_read_b128 v[110:113], v43 offset:160                    // 00000000956C: D9FE00A0 6E00002B
	ds_read_b128 v[114:117], v43 offset:192                    // 000000009574: D9FE00C0 7200002B
	ds_read_b128 v[118:121], v43 offset:224                    // 00000000957C: D9FE00E0 7600002B
	s_mul_i32 s75, 0x800, 16                                   // 000000009584: 924B90FF 00000800
	s_mul_i32 s56, s67, s75                                    // 00000000958C: 92384B43
	s_mul_i32 s57, s81, s56                                    // 000000009590: 92393851
	s_mul_i32 s56, s3, s57                                     // 000000009594: 92383903
	s_mul_i32 s57, s4, s75                                     // 000000009598: 92394B04
	s_add_u32 s56, s56, s57                                    // 00000000959C: 80383938
	s_add_u32 s8, s56, s8                                      // 0000000095A0: 80080838
	s_addc_u32 s9, 0, s9                                       // 0000000095A4: 82090980
	s_mov_b32 s10, s75                                         // 0000000095A8: BE8A004B
	s_mul_i32 s56, s7, 0x200                                   // 0000000095AC: 9238FF07 00000200
	v_lshrrev_b32_e32 v34, 5, v0                               // 0000000095B4: 20440085
	s_mov_b32 s57, 0x800                                       // 0000000095B8: BEB900FF 00000800
	v_mul_i32_i24_e32 v34, s57, v34                            // 0000000095C0: 0C444439
	v_and_b32_e32 v19, 31, v0                                  // 0000000095C4: 2626009F
	v_lshlrev_b32_e32 v19, 4, v19                              // 0000000095C8: 24262684
	v_add_u32_e32 v19, v19, v34                                // 0000000095CC: 68264513
	v_add_u32_e64 v19, v19, s56                                // 0000000095D0: D1340013 00007113
	v_mov_b32_e32 v51, v19                                     // 0000000095D8: 7E660313
	v_mov_b32_e32 v19, v51                                     // 0000000095DC: 7E260333
	s_waitcnt lgkmcnt(7)                                       // 0000000095E0: BF8CC77F
	buffer_store_dwordx4 v[90:93], v19, s[8:11], 0 offen       // 0000000095E4: E07C1000 80025A13
	v_add_u32_e32 v19, 0x1000, v19                             // 0000000095EC: 682626FF 00001000
	s_waitcnt lgkmcnt(6)                                       // 0000000095F4: BF8CC67F
	buffer_store_dwordx4 v[94:97], v19, s[8:11], 0 offen       // 0000000095F8: E07C1000 80025E13
	v_add_u32_e32 v19, 0x1000, v19                             // 000000009600: 682626FF 00001000
	s_waitcnt lgkmcnt(5)                                       // 000000009608: BF8CC57F
	buffer_store_dwordx4 v[98:101], v19, s[8:11], 0 offen      // 00000000960C: E07C1000 80026213
	v_add_u32_e32 v19, 0x1000, v19                             // 000000009614: 682626FF 00001000
	s_waitcnt lgkmcnt(4)                                       // 00000000961C: BF8CC47F
	buffer_store_dwordx4 v[102:105], v19, s[8:11], 0 offen     // 000000009620: E07C1000 80026613
	v_add_u32_e32 v19, 0x1000, v19                             // 000000009628: 682626FF 00001000
	s_waitcnt lgkmcnt(3)                                       // 000000009630: BF8CC37F
	buffer_store_dwordx4 v[106:109], v19, s[8:11], 0 offen     // 000000009634: E07C1000 80026A13
	v_add_u32_e32 v19, 0x1000, v19                             // 00000000963C: 682626FF 00001000
	s_waitcnt lgkmcnt(2)                                       // 000000009644: BF8CC27F
	buffer_store_dwordx4 v[110:113], v19, s[8:11], 0 offen     // 000000009648: E07C1000 80026E13
	v_add_u32_e32 v19, 0x1000, v19                             // 000000009650: 682626FF 00001000
	s_waitcnt lgkmcnt(1)                                       // 000000009658: BF8CC17F
	buffer_store_dwordx4 v[114:117], v19, s[8:11], 0 offen     // 00000000965C: E07C1000 80027213
	v_add_u32_e32 v19, 0x1000, v19                             // 000000009664: 682626FF 00001000
	s_waitcnt lgkmcnt(0)                                       // 00000000966C: BF8CC07F
	buffer_store_dwordx4 v[118:121], v19, s[8:11], 0 offen     // 000000009670: E07C1000 80027613
	v_add_u32_e32 v19, 0x1000, v19                             // 000000009678: 682626FF 00001000
	s_mul_i32 s56, s67, s75                                    // 000000009680: 92384B43
	s_add_u32 s8, s56, s8                                      // 000000009684: 80080838
	s_addc_u32 s9, 0, s9                                       // 000000009688: 82090980
	v_mov_b32_e32 v34, v44                                     // 00000000968C: 7E44032C
	buffer_store_dword v44, v18, s[12:15], 0 offen             // 000000009690: E0701000 80032C12
	ds_write_b32 v5, v16 offset:21120                          // 000000009698: D81A5280 00001005
	s_waitcnt lgkmcnt(0)                                       // 0000000096A0: BF8CC07F
	s_barrier                                                  // 0000000096A4: BF8A0000
	ds_read_b32 v58, v4 offset:21120                           // 0000000096A8: D86C5280 3A000004
	ds_read_b32 v59, v4 offset:21184                           // 0000000096B0: D86C52C0 3B000004
	ds_read_b32 v60, v4 offset:21248                           // 0000000096B8: D86C5300 3C000004
	ds_read_b32 v61, v4 offset:21312                           // 0000000096C0: D86C5340 3D000004
	ds_read_b32 v62, v4 offset:21376                           // 0000000096C8: D86C5380 3E000004
	ds_read_b32 v63, v4 offset:21440                           // 0000000096D0: D86C53C0 3F000004
	ds_read_b32 v64, v4 offset:21504                           // 0000000096D8: D86C5400 40000004
	ds_read_b32 v65, v4 offset:21568                           // 0000000096E0: D86C5440 41000004
	ds_read_b32 v66, v4 offset:21632                           // 0000000096E8: D86C5480 42000004
	ds_read_b32 v67, v4 offset:21696                           // 0000000096F0: D86C54C0 43000004
	ds_read_b32 v68, v4 offset:21760                           // 0000000096F8: D86C5500 44000004
	ds_read_b32 v69, v4 offset:21824                           // 000000009700: D86C5540 45000004
	ds_read_b32 v70, v4 offset:21888                           // 000000009708: D86C5580 46000004
	ds_read_b32 v71, v4 offset:21952                           // 000000009710: D86C55C0 47000004
	ds_read_b32 v72, v4 offset:22016                           // 000000009718: D86C5600 48000004
	ds_read_b32 v73, v4 offset:22080                           // 000000009720: D86C5640 49000004
	s_waitcnt lgkmcnt(0)                                       // 000000009728: BF8CC07F
	v_mov_b32_e32 v16, 0                                       // 00000000972C: 7E200280
	v_add_f32_e32 v16, v58, v16                                // 000000009730: 0220213A
	v_add_f32_e32 v16, v59, v16                                // 000000009734: 0220213B
	v_add_f32_e32 v16, v60, v16                                // 000000009738: 0220213C
	v_add_f32_e32 v16, v61, v16                                // 00000000973C: 0220213D
	v_add_f32_e32 v16, v62, v16                                // 000000009740: 0220213E
	v_add_f32_e32 v16, v63, v16                                // 000000009744: 0220213F
	v_add_f32_e32 v16, v64, v16                                // 000000009748: 02202140
	v_add_f32_e32 v16, v65, v16                                // 00000000974C: 02202141
	v_add_f32_e32 v16, v66, v16                                // 000000009750: 02202142
	v_add_f32_e32 v16, v67, v16                                // 000000009754: 02202143
	;; [unrolled: 1-line block ×3, first 2 shown]
	v_add_f32_e32 v16, v69, v16                                // 00000000975C: 02202145
	v_add_f32_e32 v16, v70, v16                                // 000000009760: 02202146
	v_add_f32_e32 v16, v71, v16                                // 000000009764: 02202147
	;; [unrolled: 1-line block ×3, first 2 shown]
	v_add_f32_e32 v16, v73, v16                                // 00000000976C: 02202149
	v_mul_f32_e64 v34, v13, s64                                // 000000009770: D1050022 0000810D
	v_log_f32_e32 v35, v16                                     // 000000009778: 7E464310
	s_nop 1                                                    // 00000000977C: BF800001
	v_rcp_f32_e32 v16, v16                                     // 000000009780: 7E204510
	s_nop 1                                                    // 000000009784: BF800001
	v_fma_f32 v45, v35, s63, v34                               // 000000009788: D1CB002D 04887F23
	v_mul_f32_e32 v122, v16, v122                              // 000000009790: 0AF4F510
	v_mul_f32_e32 v123, v16, v123                              // 000000009794: 0AF6F710
	v_mul_f32_e32 v124, v16, v124                              // 000000009798: 0AF8F910
	v_mul_f32_e32 v125, v16, v125                              // 00000000979C: 0AFAFB10
	v_mul_f32_e32 v126, v16, v126                              // 0000000097A0: 0AFCFD10
	v_mul_f32_e32 v127, v16, v127                              // 0000000097A4: 0AFEFF10
	v_mul_f32_e32 v128, v16, v128                              // 0000000097A8: 0B010110
	v_mul_f32_e32 v129, v16, v129                              // 0000000097AC: 0B030310
	v_mul_f32_e32 v130, v16, v130                              // 0000000097B0: 0B050510
	v_mul_f32_e32 v131, v16, v131                              // 0000000097B4: 0B070710
	v_mul_f32_e32 v132, v16, v132                              // 0000000097B8: 0B090910
	v_mul_f32_e32 v133, v16, v133                              // 0000000097BC: 0B0B0B10
	v_mul_f32_e32 v134, v16, v134                              // 0000000097C0: 0B0D0D10
	v_mul_f32_e32 v135, v16, v135                              // 0000000097C4: 0B0F0F10
	v_mul_f32_e32 v136, v16, v136                              // 0000000097C8: 0B111110
	v_mul_f32_e32 v137, v16, v137                              // 0000000097CC: 0B131310
	v_mul_f32_e32 v138, v16, v138                              // 0000000097D0: 0B151510
	v_mul_f32_e32 v139, v16, v139                              // 0000000097D4: 0B171710
	v_mul_f32_e32 v140, v16, v140                              // 0000000097D8: 0B191910
	v_mul_f32_e32 v141, v16, v141                              // 0000000097DC: 0B1B1B10
	v_mul_f32_e32 v142, v16, v142                              // 0000000097E0: 0B1D1D10
	v_mul_f32_e32 v143, v16, v143                              // 0000000097E4: 0B1F1F10
	v_mul_f32_e32 v144, v16, v144                              // 0000000097E8: 0B212110
	v_mul_f32_e32 v145, v16, v145                              // 0000000097EC: 0B232310
	v_mul_f32_e32 v146, v16, v146                              // 0000000097F0: 0B252510
	v_mul_f32_e32 v147, v16, v147                              // 0000000097F4: 0B272710
	v_mul_f32_e32 v148, v16, v148                              // 0000000097F8: 0B292910
	v_mul_f32_e32 v149, v16, v149                              // 0000000097FC: 0B2B2B10
	v_mul_f32_e32 v150, v16, v150                              // 000000009800: 0B2D2D10
	v_mul_f32_e32 v151, v16, v151                              // 000000009804: 0B2F2F10
	v_mul_f32_e32 v152, v16, v152                              // 000000009808: 0B313110
	v_mul_f32_e32 v153, v16, v153                              // 00000000980C: 0B333310
	s_waitcnt lgkmcnt(0)                                       // 000000009810: BF8CC07F
	s_barrier                                                  // 000000009814: BF8A0000
	v_lshlrev_b32_e32 v43, 2, v0                               // 000000009818: 24560082
	s_mul_i32 s56, s7, 0x820                                   // 00000000981C: 9238FF07 00000820
	v_add_u32_e32 v43, s56, v43                                // 000000009824: 68565638
	v_lshlrev_b32_e32 v43, 2, v43                              // 000000009828: 24565682
	v_mov_b32_e32 v34, v122                                    // 00000000982C: 7E44037A
	v_mov_b32_e32 v35, v126                                    // 000000009830: 7E46037E
	v_mov_b32_e32 v36, v130                                    // 000000009834: 7E480382
	v_mov_b32_e32 v37, v134                                    // 000000009838: 7E4A0386
	v_mul_f32_e32 v34, s41, v34                                // 00000000983C: 0A444429
	v_mul_f32_e32 v35, s41, v35                                // 000000009840: 0A464629
	v_mul_f32_e32 v36, s41, v36                                // 000000009844: 0A484829
	v_mul_f32_e32 v37, s41, v37                                // 000000009848: 0A4A4A29
	ds_write_b128 v43, v[34:37]                                // 00000000984C: D9BE0000 0000222B
	v_mov_b32_e32 v34, v123                                    // 000000009854: 7E44037B
	v_mov_b32_e32 v35, v127                                    // 000000009858: 7E46037F
	v_mov_b32_e32 v36, v131                                    // 00000000985C: 7E480383
	v_mov_b32_e32 v37, v135                                    // 000000009860: 7E4A0387
	v_mul_f32_e32 v34, s41, v34                                // 000000009864: 0A444429
	v_mul_f32_e32 v35, s41, v35                                // 000000009868: 0A464629
	v_mul_f32_e32 v36, s41, v36                                // 00000000986C: 0A484829
	v_mul_f32_e32 v37, s41, v37                                // 000000009870: 0A4A4A29
	ds_write_b128 v43, v[34:37] offset:1040                    // 000000009874: D9BE0410 0000222B
	v_mov_b32_e32 v34, v124                                    // 00000000987C: 7E44037C
	v_mov_b32_e32 v35, v128                                    // 000000009880: 7E460380
	v_mov_b32_e32 v36, v132                                    // 000000009884: 7E480384
	v_mov_b32_e32 v37, v136                                    // 000000009888: 7E4A0388
	v_mul_f32_e32 v34, s41, v34                                // 00000000988C: 0A444429
	v_mul_f32_e32 v35, s41, v35                                // 000000009890: 0A464629
	v_mul_f32_e32 v36, s41, v36                                // 000000009894: 0A484829
	v_mul_f32_e32 v37, s41, v37                                // 000000009898: 0A4A4A29
	ds_write_b128 v43, v[34:37] offset:2080                    // 00000000989C: D9BE0820 0000222B
	v_mov_b32_e32 v34, v125                                    // 0000000098A4: 7E44037D
	v_mov_b32_e32 v35, v129                                    // 0000000098A8: 7E460381
	v_mov_b32_e32 v36, v133                                    // 0000000098AC: 7E480385
	v_mov_b32_e32 v37, v137                                    // 0000000098B0: 7E4A0389
	v_mul_f32_e32 v34, s41, v34                                // 0000000098B4: 0A444429
	v_mul_f32_e32 v35, s41, v35                                // 0000000098B8: 0A464629
	v_mul_f32_e32 v36, s41, v36                                // 0000000098BC: 0A484829
	v_mul_f32_e32 v37, s41, v37                                // 0000000098C0: 0A4A4A29
	ds_write_b128 v43, v[34:37] offset:3120                    // 0000000098C4: D9BE0C30 0000222B
	v_mov_b32_e32 v34, v138                                    // 0000000098CC: 7E44038A
	v_mov_b32_e32 v35, v142                                    // 0000000098D0: 7E46038E
	v_mov_b32_e32 v36, v146                                    // 0000000098D4: 7E480392
	v_mov_b32_e32 v37, v150                                    // 0000000098D8: 7E4A0396
	v_mul_f32_e32 v34, s41, v34                                // 0000000098DC: 0A444429
	v_mul_f32_e32 v35, s41, v35                                // 0000000098E0: 0A464629
	v_mul_f32_e32 v36, s41, v36                                // 0000000098E4: 0A484829
	v_mul_f32_e32 v37, s41, v37                                // 0000000098E8: 0A4A4A29
	ds_write_b128 v43, v[34:37] offset:4160                    // 0000000098EC: D9BE1040 0000222B
	v_mov_b32_e32 v34, v139                                    // 0000000098F4: 7E44038B
	v_mov_b32_e32 v35, v143                                    // 0000000098F8: 7E46038F
	v_mov_b32_e32 v36, v147                                    // 0000000098FC: 7E480393
	v_mov_b32_e32 v37, v151                                    // 000000009900: 7E4A0397
	v_mul_f32_e32 v34, s41, v34                                // 000000009904: 0A444429
	v_mul_f32_e32 v35, s41, v35                                // 000000009908: 0A464629
	v_mul_f32_e32 v36, s41, v36                                // 00000000990C: 0A484829
	v_mul_f32_e32 v37, s41, v37                                // 000000009910: 0A4A4A29
	ds_write_b128 v43, v[34:37] offset:5200                    // 000000009914: D9BE1450 0000222B
	v_mov_b32_e32 v34, v140                                    // 00000000991C: 7E44038C
	v_mov_b32_e32 v35, v144                                    // 000000009920: 7E460390
	v_mov_b32_e32 v36, v148                                    // 000000009924: 7E480394
	v_mov_b32_e32 v37, v152                                    // 000000009928: 7E4A0398
	v_mul_f32_e32 v34, s41, v34                                // 00000000992C: 0A444429
	v_mul_f32_e32 v35, s41, v35                                // 000000009930: 0A464629
	v_mul_f32_e32 v36, s41, v36                                // 000000009934: 0A484829
	v_mul_f32_e32 v37, s41, v37                                // 000000009938: 0A4A4A29
	ds_write_b128 v43, v[34:37] offset:6240                    // 00000000993C: D9BE1860 0000222B
	v_mov_b32_e32 v34, v141                                    // 000000009944: 7E44038D
	v_mov_b32_e32 v35, v145                                    // 000000009948: 7E460391
	v_mov_b32_e32 v36, v149                                    // 00000000994C: 7E480395
	v_mov_b32_e32 v37, v153                                    // 000000009950: 7E4A0399
	v_mul_f32_e32 v34, s41, v34                                // 000000009954: 0A444429
	v_mul_f32_e32 v35, s41, v35                                // 000000009958: 0A464629
	v_mul_f32_e32 v36, s41, v36                                // 00000000995C: 0A484829
	v_mul_f32_e32 v37, s41, v37                                // 000000009960: 0A4A4A29
	ds_write_b128 v43, v[34:37] offset:7280                    // 000000009964: D9BE1C70 0000222B
	v_mov_b32_e32 v34, 0                                       // 00000000996C: 7E440280
	v_mov_b32_e32 v35, 4                                       // 000000009970: 7E460284
	s_mov_b32 s56, 0xffff0000                                  // 000000009974: BEB800FF FFFF0000
	s_mov_b32 s57, 0xffff0000                                  // 00000000997C: BEB900FF FFFF0000
	v_cndmask_b32_e64 v36, v34, v35, s[56:57]                  // 000000009984: D1000024 00E24722
	v_and_b32_e32 v34, 3, v0                                   // 00000000998C: 26440083
	v_add_u32_e32 v34, v34, v36                                // 000000009990: 68444922
	s_mov_b32 s56, 0x104                                       // 000000009994: BEB800FF 00000104
	v_mul_i32_i24_e32 v34, s56, v34                            // 00000000999C: 0C444438
	v_and_b32_e32 v35, 15, v0                                  // 0000000099A0: 2646008F
	v_lshrrev_b32_e32 v35, 2, v35                              // 0000000099A4: 20464682
	s_mov_b32 s56, 64                                          // 0000000099A8: BEB800C0
	v_mul_i32_i24_e32 v35, s56, v35                            // 0000000099AC: 0C464638
	v_lshrrev_b32_e32 v36, 5, v0                               // 0000000099B0: 20480085
	v_lshlrev_b32_e32 v36, 2, v36                              // 0000000099B4: 24484882
	v_add_u32_e32 v43, v34, v35                                // 0000000099B8: 68564722
	v_add_u32_e32 v43, v43, v36                                // 0000000099BC: 6856492B
	s_mul_i32 s56, s7, 0x820                                   // 0000000099C0: 9238FF07 00000820
	v_add_u32_e32 v43, s56, v43                                // 0000000099C8: 68565638
	v_lshlrev_b32_e32 v43, 2, v43                              // 0000000099CC: 24565682
	s_waitcnt lgkmcnt(0)                                       // 0000000099D0: BF8CC07F
	ds_read_b128 v[122:125], v43                               // 0000000099D4: D9FE0000 7A00002B
	ds_read_b128 v[126:129], v43 offset:32                     // 0000000099DC: D9FE0020 7E00002B
	ds_read_b128 v[130:133], v43 offset:64                     // 0000000099E4: D9FE0040 8200002B
	ds_read_b128 v[134:137], v43 offset:96                     // 0000000099EC: D9FE0060 8600002B
	ds_read_b128 v[138:141], v43 offset:128                    // 0000000099F4: D9FE0080 8A00002B
	ds_read_b128 v[142:145], v43 offset:160                    // 0000000099FC: D9FE00A0 8E00002B
	ds_read_b128 v[146:149], v43 offset:192                    // 000000009A04: D9FE00C0 9200002B
	ds_read_b128 v[150:153], v43 offset:224                    // 000000009A0C: D9FE00E0 9600002B
	v_mov_b32_e32 v19, v51                                     // 000000009A14: 7E260333
	s_waitcnt lgkmcnt(7)                                       // 000000009A18: BF8CC77F
	buffer_store_dwordx4 v[122:125], v19, s[8:11], 0 offen     // 000000009A1C: E07C1000 80027A13
	v_add_u32_e32 v19, 0x1000, v19                             // 000000009A24: 682626FF 00001000
	s_waitcnt lgkmcnt(6)                                       // 000000009A2C: BF8CC67F
	buffer_store_dwordx4 v[126:129], v19, s[8:11], 0 offen     // 000000009A30: E07C1000 80027E13
	v_add_u32_e32 v19, 0x1000, v19                             // 000000009A38: 682626FF 00001000
	s_waitcnt lgkmcnt(5)                                       // 000000009A40: BF8CC57F
	buffer_store_dwordx4 v[130:133], v19, s[8:11], 0 offen     // 000000009A44: E07C1000 80028213
	v_add_u32_e32 v19, 0x1000, v19                             // 000000009A4C: 682626FF 00001000
	s_waitcnt lgkmcnt(4)                                       // 000000009A54: BF8CC47F
	buffer_store_dwordx4 v[134:137], v19, s[8:11], 0 offen     // 000000009A58: E07C1000 80028613
	v_add_u32_e32 v19, 0x1000, v19                             // 000000009A60: 682626FF 00001000
	s_waitcnt lgkmcnt(3)                                       // 000000009A68: BF8CC37F
	buffer_store_dwordx4 v[138:141], v19, s[8:11], 0 offen     // 000000009A6C: E07C1000 80028A13
	v_add_u32_e32 v19, 0x1000, v19                             // 000000009A74: 682626FF 00001000
	s_waitcnt lgkmcnt(2)                                       // 000000009A7C: BF8CC27F
	buffer_store_dwordx4 v[142:145], v19, s[8:11], 0 offen     // 000000009A80: E07C1000 80028E13
	v_add_u32_e32 v19, 0x1000, v19                             // 000000009A88: 682626FF 00001000
	s_waitcnt lgkmcnt(1)                                       // 000000009A90: BF8CC17F
	buffer_store_dwordx4 v[146:149], v19, s[8:11], 0 offen     // 000000009A94: E07C1000 80029213
	v_add_u32_e32 v19, 0x1000, v19                             // 000000009A9C: 682626FF 00001000
	s_waitcnt lgkmcnt(0)                                       // 000000009AA4: BF8CC07F
	buffer_store_dwordx4 v[150:153], v19, s[8:11], 0 offen     // 000000009AA8: E07C1000 80029613
	v_add_u32_e32 v19, 0x1000, v19                             // 000000009AB0: 682626FF 00001000
	s_mul_i32 s56, s67, 64                                     // 000000009AB8: 9238C043
	s_add_u32 s12, s56, s12                                    // 000000009ABC: 800C0C38
	s_addc_u32 s13, 0, s13                                     // 000000009AC0: 820D0D80
	v_mov_b32_e32 v34, v45                                     // 000000009AC4: 7E44032D
	buffer_store_dword v45, v18, s[12:15], 0 offen             // 000000009AC8: E0701000 80032D12

0000000000009ad0 <label_1E37>:
	s_waitcnt vmcnt(0) expcnt(0) lgkmcnt(0)                    // 000000009AD0: BF8C0000
	s_endpgm                                                   // 000000009AD4: BF810000
